;; amdgpu-corpus repo=ROCm/rocm-libraries kind=harvested arch=n/a opt=n/a

/******************************************/
/* Begin Kernel                           */
/******************************************/
.amdgcn_target "amdgcn-amd-amdhsa--gfx942"
.text
.protected Custom_Cijk_Ailk_Bljk_F8NH_HHS_BH_Bias_GG_AS_SAB_SAV_UserArgs_shortname17_gfx942
.globl Custom_Cijk_Ailk_Bljk_F8NH_HHS_BH_Bias_GG_AS_SAB_SAV_UserArgs_shortname17_gfx942
.p2align 8
.type Custom_Cijk_Ailk_Bljk_F8NH_HHS_BH_Bias_GG_AS_SAB_SAV_UserArgs_shortname17_gfx942,@function
.section .rodata,#alloc
.p2align 6
.amdhsa_kernel Custom_Cijk_Ailk_Bljk_F8NH_HHS_BH_Bias_GG_AS_SAB_SAV_UserArgs_shortname17_gfx942
  .amdhsa_user_sgpr_kernarg_segment_ptr 1
  .amdhsa_accum_offset 256 // accvgpr offset
  .amdhsa_next_free_vgpr 512 // vgprs
  .amdhsa_next_free_sgpr 102 // sgprs
  .amdhsa_group_segment_fixed_size 65536 // lds bytes
  .amdhsa_private_segment_fixed_size 0
  .amdhsa_system_sgpr_workgroup_id_x 1
  .amdhsa_system_sgpr_workgroup_id_y 1
  .amdhsa_system_sgpr_workgroup_id_z 1
  .amdhsa_system_vgpr_workitem_id 0
  .amdhsa_float_denorm_mode_32 3
  .amdhsa_float_denorm_mode_16_64 3
  .amdhsa_user_sgpr_count 13
  .amdhsa_user_sgpr_kernarg_preload_length 11
  .amdhsa_user_sgpr_kernarg_preload_offset 0
.end_amdhsa_kernel
.text
/* Num VGPR   =160 */
/* Num AccVGPR=352 */
/* Num SGPR   =78 */

/******************************************/
/* Optimizations and Config:              */
/******************************************/
/* ThreadTile= 32 x 11 */
/* SubGroup= 8 x 32 */
/* VectorWidthA=8 */
/* VectorWidthB=1 */
/* GlobalReadVectorWidthA=8, GlobalReadVectorWidthB=4 */
/* DirectToLdsA=False */
/* DirectToLdsB=False */
/* UseSgprForGRO=1 */
.amdgpu_metadata
---
custom.config:
   ProblemType:
      OperationType: GEMM
      DataTypeA: f8n
      DataTypeB: h
      UseScaleAB: "Scalar"
      DataType: h
      DestDataType: h
      ComputeDataType: s
      HighPrecisionAccumulate: True
      TransposeA: False
      TransposeB: False
      UseBias: 1
      Activation: True
      UseScaleAlphaVec: 1
      UseBeta: True
      Batched: True
      GroupedGemm:   True
      SupportUserArgs: True
   EnableF32XdlMathOp: False
   EnableMatrixInstruction: True
   MFMA_BF16_1K: False
   MIBlock: [16, 16, 16, 1, 1, 1]
   MIInputPerThread: 4
   MIInputPerThreadA: 4
   MIInputPerThreadB: 4
   MIInputPerThreadMetadata: 4
   MIWaveGroup: [2, 2]
   MIWaveTile: [8, 11]
   MatrixInstB: 1
   MatrixInstBM: 1
   MatrixInstBN: 1
   MatrixInstK: 16
   MatrixInstM: 16
   MatrixInstN: 16
   MatrixInstruction: [16, 16, 16, 1]
   Sparse: 0
   ThreadTile: [1, 1]
   WavefrontSize: 64
   WorkGroup: [32, 8, 1]
   1LDSBuffer: 1
   ScheduleIterAlg: 3
   DepthU: 32
   StaggerU: 0
   WorkGroupMapping: 1
   WaveSeparateGlobalReadA: 1
   WaveSeparateGlobalReadB: 1
   GlobalReadVectorWidthA: 8
   GlobalReadVectorWidthB: 4
   AssertFree0ElementMultiple: 8
   AssertSummationElementMultiple: 1
   InternalSupportParams:
      KernArgsVersion: 0
      SupportUserGSU: False
      SupportCustomWGM: False
      SupportCustomStaggerU: False
      UseUniversalArgs: False
amdhsa.version:
  - 1
  - 1
amdhsa.kernels:
  - .name: Custom_Cijk_Ailk_Bljk_F8NH_HHS_BH_Bias_GG_AS_SAB_SAV_UserArgs_shortname17_gfx942
    .symbol: 'Custom_Cijk_Ailk_Bljk_F8NH_HHS_BH_Bias_GG_AS_SAB_SAV_UserArgs_shortname17_gfx942.kd'
    .language:                   OpenCL C
    .language_version:
      - 2
      - 0
    .args:
      - .name:            SizesFree0
        .size:            4
        .offset:          0
        .value_kind:      by_value
        .value_type:      u32
      - .name:            SizesFree1
        .size:            4
        .offset:          4
        .value_kind:      by_value
        .value_type:      u32
      - .name:            SizesFree2
        .size:            4
        .offset:          8
        .value_kind:      by_value
        .value_type:      u32
      - .name:            SizesSum0
        .size:            4
        .offset:          12
        .value_kind:      by_value
        .value_type:      u32
      - .name:            D
        .size:            8
        .offset:          16
        .value_kind:      global_buffer
        .value_type:      f16
        .address_space:   generic
      - .name:            C
        .size:            8
        .offset:          24
        .value_kind:      global_buffer
        .value_type:      f16
        .address_space:   generic
      - .name:            A
        .size:            8
        .offset:          32
        .value_kind:      global_buffer
        .value_type:      f16
        .address_space:   generic
      - .name:            B
        .size:            8
        .offset:          40
        .value_kind:      global_buffer
        .value_type:      f16
        .address_space:   generic
      - .name:            strideD0
        .size:            4
        .offset:          48
        .value_kind:      by_value
        .value_type:      u32
      - .name:            strideD1
        .size:            4
        .offset:          52
        .value_kind:      by_value
        .value_type:      u32
      - .name:            strideC0
        .size:            4
        .offset:          56
        .value_kind:      by_value
        .value_type:      u32
      - .name:            strideC1
        .size:            4
        .offset:          60
        .value_kind:      by_value
        .value_type:      u32
      - .name:            strideA0
        .size:            4
        .offset:          64
        .value_kind:      by_value
        .value_type:      u32
      - .name:            strideA1
        .size:            4
        .offset:          68
        .value_kind:      by_value
        .value_type:      u32
      - .name:            strideB0
        .size:            4
        .offset:          72
        .value_kind:      by_value
        .value_type:      u32
      - .name:            strideB1
        .size:            4
        .offset:          76
        .value_kind:      by_value
        .value_type:      u32
      - .name:            alpha
        .size:            4
        .offset:          80
        .value_kind:      by_value
        .value_type:      f32
      - .name:            beta
        .size:            4
        .offset:          84
        .value_kind:      by_value
        .value_type:      f32
      - .name:            AddressScaleA
        .size:            8
        .offset:          88
        .value_kind:      global_buffer
        .value_type:      f32
        .address_space:   generic
      - .name:            AddressScaleB
        .size:            8
        .offset:          96
        .value_kind:      global_buffer
        .value_type:      f32
        .address_space:   generic
      - .name:            AddressScaleAlphaVec
        .size:            8
        .offset:          104
        .value_kind:      global_buffer
        .value_type:      f32
        .address_space:   generic
      - .name:            bias
        .size:            8
        .offset:          112
        .value_kind:      global_buffer
        .value_type:      void
        .address_space:   generic
      - .name:            biasType
        .size:            4
        .offset:          120
        .value_kind:      by_value
        .value_type:      u32
      - .name:            StrideBias
        .size:            4
        .offset:          124
        .value_kind:      by_value
        .value_type:      u32
      - .name:            activationAlpha
        .size:            4
        .offset:          128
        .value_kind:      by_value
        .value_type:      f32
      - .name:            activationBeta
        .size:            4
        .offset:          132
        .value_kind:      by_value
        .value_type:      f32
      - .name:            activationType
        .size:            4
        .offset:          136
        .value_kind:      by_value
        .value_type:      u32
    .group_segment_fixed_size:   40448
    .kernarg_segment_align:      8
    .kernarg_segment_size:       144
    .max_flat_workgroup_size:    256
    .private_segment_fixed_size: 0
    .sgpr_count:                 78
    .sgpr_spill_count:           0
    .vgpr_count:                 160
    .vgpr_spill_count:           0
    .wavefront_size:             64
...
.end_amdgpu_metadata
Custom_Cijk_Ailk_Bljk_F8NH_HHS_BH_Bias_GG_AS_SAB_SAV_UserArgs_shortname17_gfx942:
.long 0xC00206C0, 0x00000000
.long 0xC0020A80, 0x00000018
	;; [unrolled: 1-line block ×4, first 2 shown]
.long 0xBF8CC07F
.long 0xBF82003D
	;; [unrolled: 1-line block ×63, first 2 shown]
.long 0xBEB800FF, 0x05040100
.long 0xBEB900FF, 0x07060302
	;; [unrolled: 1-line block ×3, first 2 shown]
.long 0x7F100300
.long 0xBE82000D
	;; [unrolled: 1-line block ×6, first 2 shown]
.long 0xBE9A00FF, 0x0000008C
.long 0x9216841B
.long 0xBE900100
.long 0xBF820004
.long 0xBE9A00FF, 0x000000C4
.long 0xBE960080
.long 0xBE900106
.long 0xBE980081
.long 0xBE970080
.long 0xC0080308, 0x00000016
.long 0xB41B0001
	;; [unrolled: 5-line block ×3, first 2 shown]
.long 0xBE930080
.long 0x92120DFF, 0x00000174
.long 0x8E929012
.long 0x9215FF0D, 0x00005D18
.long 0x80121215
.long 0x82138013
	;; [unrolled: 1-line block ×3, first 2 shown]
.long 0x9213FF12, 0x00000160
.long 0xBF070D13
.long 0x82158012
	;; [unrolled: 1-line block ×9, first 2 shown]
.long 0xC0080308, 0x00000016
.long 0x80188118
.long 0xBF0A1B18
	;; [unrolled: 1-line block ×5, first 2 shown]
.long 0x86120CFF, 0x000000FF
.long 0x82148014
.long 0xBE930080
.long 0x92120DFF, 0x00000174
.long 0x8E929012
.long 0x9215FF0D, 0x00005D18
.long 0x80121215
.long 0x82138013
	;; [unrolled: 1-line block ×3, first 2 shown]
.long 0x9213FF12, 0x00000160
.long 0xBF070D13
.long 0x82158012
	;; [unrolled: 1-line block ×13, first 2 shown]
.long 0x920BFF0B, 0x0000008C
.long 0x80000B00
.long 0x82018001
.long 0xC0120500, 0x00000000
.long 0xC00A0900, 0x00000040
	;; [unrolled: 1-line block ×3, first 2 shown]
.long 0xBF82000C
.long 0x920BFF0B, 0x000000C4
.long 0x80060B06
.long 0x82078007
.long 0xC0120503, 0x00000000
.long 0xC00A0903, 0x00000040
	;; [unrolled: 1-line block ×4, first 2 shown]
.long 0x260310BF
.long 0x2600028F
	;; [unrolled: 1-line block ×31, first 2 shown]
.long 0xBE8B00FF, 0x00000100
.long 0xD2850002, 0x0002040B
	;; [unrolled: 1-line block ×3, first 2 shown]
.long 0x20011088
.long 0xBE8B00FF, 0x00000160
.long 0xD2850000, 0x0002000B
	;; [unrolled: 1-line block ×3, first 2 shown]
.long 0x2004FE87
.long 0x24040483
.long 0x68FEFF02
.long 0x32FEFEFF, 0x00004000
.long 0x260910BF
.long 0x20020885
	;; [unrolled: 1-line block ×13, first 2 shown]
.long 0x920BFF0B, 0x00000058
.long 0x6804040B
.long 0x24060682
.long 0x10B802FF, 0x00000100
.long 0xD1FE005C, 0x0206B900
.long 0x10BA04A0
.long 0xD1FE005D, 0x0206BB03
.long 0x2008BA87
.long 0x24080883
	;; [unrolled: 1-line block ×3, first 2 shown]
.long 0x32BABAFF, 0x00004000
.long 0xBF8CC07F
.long 0x7E0C02FF, 0x00000100
.long 0x7E0A0214
.long 0x7E080D06
	;; [unrolled: 1-line block ×8, first 2 shown]
.long 0xD0CD006A, 0x00010107
.long 0xD11C6A04, 0x01A90104
	;; [unrolled: 1-line block ×3, first 2 shown]
.long 0x7E0A0215
.long 0x7E120504
	;; [unrolled: 1-line block ×9, first 2 shown]
.long 0xD0CD006A, 0x00010107
.long 0xD11C6A04, 0x01A90104
.long 0xBF800000
.long 0x7E140504
	;; [unrolled: 1-line block ×12, first 2 shown]
.long 0xD1080005, 0x00009104
.long 0x6A0A0A02
.long 0xD0DA007E, 0x00009105
.long 0x68080881
.long 0xBEFE01C1
.long 0x7E900504
.long 0xBE840048
.long 0x9248090A
.long 0x92480448
.long 0x92482A48
.long 0x80824802
.long 0x7E080C09
.long 0x7E084704
.long 0x7E0A0C02
.long 0x0A080B04
.long 0x7E080F04
.long 0xD1080005, 0x00001304
.long 0x6A0A0A02
.long 0xD0DA007E, 0x00001305
.long 0x68080881
.long 0xBEFE01C1
	;; [unrolled: 1-line block ×13, first 2 shown]
.long 0xD042006A, 0x00010028
.long 0xBF860001
.long 0xBE970080
.long 0xD2850004, 0x00020224
.long 0x32BC0900
.long 0x68BCBC88
	;; [unrolled: 1-line block ×5, first 2 shown]
.long 0xD2850004, 0x00020426
.long 0x32BE0903
.long 0x68BEBE84
	;; [unrolled: 1-line block ×19, first 2 shown]
.long 0x9245FF26, 0x00000048
.long 0x8E458145
.long 0x9246FF26, 0x00000050
.long 0x8E468146
.long 0x964BFF02, 0x00000100
.long 0x924AFF02, 0x00000100
.long 0xBECC0081
.long 0xBECD0080
	;; [unrolled: 1-line block ×24, first 2 shown]
.long 0xBEAF00FF, 0x00020000
.long 0x964BFF03, 0x00000160
	;; [unrolled: 1-line block ×3, first 2 shown]
.long 0x964B264A
.long 0x924A264A
	;; [unrolled: 1-line block ×28, first 2 shown]
.long 0xBEB300FF, 0x00020000
.long 0x9247A02A
.long 0x920B2447
	;; [unrolled: 1-line block ×8, first 2 shown]
.long 0xE0541000, 0x800B605E
.long 0xE0541000, 0x3A0B625E
	;; [unrolled: 1-line block ×15, first 2 shown]
.long 0x802C0B2C
.long 0x822D802D
	;; [unrolled: 1-line block ×14, first 2 shown]
.long 0xBE8E00FF, 0x80000000
.long 0xBE8F00FF, 0x00020000
.long 0xBE90001A
.long 0xBE91001B
.long 0xBE9200FF, 0x80000000
.long 0xBE9300FF, 0x00020000
	;; [unrolled: 1-line block ×3, first 2 shown]
.long 0x9649224A
.long 0x9248224A
	;; [unrolled: 1-line block ×20, first 2 shown]
.long 0xD3D94000, 0x18000080
.long 0xD3D94001, 0x18000080
	;; [unrolled: 1-line block ×256, first 2 shown]
.long 0x7F180280
.long 0x7F1A0280
	;; [unrolled: 1-line block ×99, first 2 shown]
.long 0x814A84FF, 0x00001EB0
.long 0x80484A48
.long 0x82498049
	;; [unrolled: 1-line block ×5, first 2 shown]
.long 0x7F0CACF9, 0x00040680
.long 0x7F0414F9, 0x00061486
.long 0x7F0414F9, 0x00061587
.long 0x7F0CACF9, 0x00050680
.long 0x7F0614F9, 0x00061486
.long 0x7F0614F9, 0x00061587
.long 0x7F0CACF9, 0x00040681
.long 0x7F0814F9, 0x00061486
.long 0x7F0814F9, 0x00061587
.long 0x7F0CACF9, 0x00050681
.long 0x7F0A14F9, 0x00061486
.long 0x7F0A14F9, 0x00061587
.long 0xD9BE0000, 0x0000825C
.long 0x7F007162
.long 0x7F0CACF9, 0x00040680
.long 0x7F0414F9, 0x00061486
.long 0x7F0414F9, 0x00061587
.long 0x7F0CACF9, 0x00050680
.long 0x7F0614F9, 0x00061486
.long 0x7F0614F9, 0x00061587
.long 0x7F0CACF9, 0x00040681
.long 0x7F0814F9, 0x00061486
.long 0x7F0814F9, 0x00061587
.long 0x7F0CACF9, 0x00050681
.long 0x7F0A14F9, 0x00061486
.long 0x7F0A14F9, 0x00061587
.long 0xD9BE0400, 0x0000825C
.long 0x7F007164
	;; [unrolled: 14-line block ×3, first 2 shown]
.long 0x7F0CACF9, 0x00040680
.long 0x7F0414F9, 0x00061486
	;; [unrolled: 1-line block ×24, first 2 shown]
.long 0xBF068105
.long 0xBF85001E
.long 0xE0541000, 0x800B605E
.long 0xE0541000, 0x3A0B625E
	;; [unrolled: 1-line block ×15, first 2 shown]
.long 0xBF8CC07F
.long 0xBF8A0000
.long 0xD9FE0000, 0x1000007E
.long 0xD9FE0200, 0x1800007E
	;; [unrolled: 1-line block ×15, first 2 shown]
.long 0xBF068105
.long 0xBF850521
	;; [unrolled: 1-line block ×5, first 2 shown]
.long 0xD1ED0000, 0x00E22118
.long 0xD1ED0001, 0x00E24128
.long 0xD1ED0002, 0x00E62118
.long 0xD1ED0003, 0x00E64128
.long 0xD1ED0004, 0x00E22319
.long 0xD3CD8000, 0x04020130
.long 0xD9FE2000, 0x1400007E
.long 0x802C0B2C
.long 0xD1ED0005, 0x00E24329
.long 0xD1ED0006, 0x00E62319
.long 0xD1ED0007, 0x00E64329
.long 0xD1ED0008, 0x00E2251A
.long 0xD1ED0009, 0x00E2452A
.long 0xD3CD8004, 0x04120530
.long 0xD9FE2200, 0x1C00007E
.long 0x822D802D
	;; [unrolled: 8-line block ×3, first 2 shown]
.long 0xD1ED000F, 0x00E6472B
.long 0xD3CD800C, 0x04320D30
	;; [unrolled: 1-line block ×3, first 2 shown]
.long 0x82B58035
.long 0xD3CD8010, 0x04421130
.long 0xD8EC0020, 0x4600007F
.long 0xBF068035
.long 0xD3CD8014, 0x04521530
.long 0xD8EC08A0, 0x4800007F
.long 0xBEAE0234
.long 0xD3CD8018, 0x04621930
.long 0xD8EC1120, 0x4A00007F
.long 0x80302B30
.long 0xD3CD801C, 0x04721D30
.long 0xD8EC19A0, 0x4C00007F
.long 0x82318031
.long 0xD3CD8020, 0x04820132
.long 0xD8EC2220, 0x4E00007F
.long 0x80B62B36
.long 0xD3CD8024, 0x04920532
.long 0xD8EC2AA0, 0x5000007F
.long 0x82B78037
.long 0xD3CD8028, 0x04A20932
.long 0xD8EC3320, 0x5200007F
.long 0xBF068037
.long 0xD3CD802C, 0x04B20D32
.long 0xD8EC3BA0, 0x5400007F
.long 0xBEB20236
.long 0xD3CD8030, 0x04C21132
.long 0xD8EC4420, 0x5600007F
.long 0xD3CD8034, 0x04D21532
.long 0xD8EC4CA0, 0x5800007F
	;; [unrolled: 1-line block ×13, first 2 shown]
.long 0xBF8CC07F
.long 0xBF8A0000
.long 0xD3CD8060, 0x05820136
.long 0xBF8C0F7E
.long 0x7F007160
.long 0xE0541000, 0x800B605E
.long 0xD3CD8064, 0x05920536
.long 0x7F0CACF9, 0x00040680
.long 0x7F0414F9, 0x00061486
.long 0x7F0414F9, 0x00061587
.long 0xD3CD8068, 0x05A20936
.long 0x7F0CACF9, 0x00050680
.long 0x7F0614F9, 0x00061486
.long 0x7F0614F9, 0x00061587
.long 0xD3CD806C, 0x05B20D36
.long 0x7F0CACF9, 0x00040681
.long 0x7F0814F9, 0x00061486
.long 0x7F0814F9, 0x00061587
.long 0xD3CD8070, 0x05C21136
.long 0x7F0CACF9, 0x00050681
.long 0x7F0A14F9, 0x00061486
.long 0x7F0A14F9, 0x00061587
.long 0xD3CD8074, 0x05D21536
.long 0xD9BE0000, 0x0000825C
.long 0xD3CD8078, 0x05E21936
.long 0xD3CD807C, 0x05F21D36
.long 0xD3CD8080, 0x06020138
.long 0xD3CD8084, 0x06120538
.long 0xBF8C0F7E
.long 0x7F007162
.long 0xE0541000, 0x3A0B625E
.long 0xD3CD8088, 0x06220938
.long 0x7F0CACF9, 0x00040680
.long 0x7F0414F9, 0x00061486
.long 0x7F0414F9, 0x00061587
.long 0xD3CD808C, 0x06320D38
.long 0x7F0CACF9, 0x00050680
.long 0x7F0614F9, 0x00061486
.long 0x7F0614F9, 0x00061587
.long 0xD3CD8090, 0x06421138
.long 0x7F0CACF9, 0x00040681
.long 0x7F0814F9, 0x00061486
.long 0x7F0814F9, 0x00061587
.long 0xD3CD8094, 0x06521538
.long 0x7F0CACF9, 0x00050681
.long 0x7F0A14F9, 0x00061486
.long 0x7F0A14F9, 0x00061587
.long 0xD3CD8098, 0x06621938
.long 0xD9BE0400, 0x0000825C
.long 0xD3CD809C, 0x06721D38
.long 0xD3CD80A0, 0x0682013A
.long 0xD3CD80A4, 0x0692053A
	;; [unrolled: 25-line block ×4, first 2 shown]
.long 0xD3CD80F0, 0x07C2113E
.long 0xBF8C0F7E
.long 0xD89A0000, 0x0000685D
.long 0xD3CD80F4, 0x07D2153E
.long 0xE0541000, 0x800C685F
.long 0xD3CD80F8, 0x07E2193E
.long 0xD3CD80FC, 0x07F21D3E
.long 0xD3CD008C, 0x06320140
.long 0xD3CD0090, 0x06420540
.long 0xD3CD0094, 0x06520940
.long 0xD3CD0098, 0x06620D40
.long 0xD3CD009C, 0x06721140
.long 0xD3CD00A0, 0x06821540
.long 0xBF8C0F7E
.long 0xD89A0220, 0x00006A5D
.long 0xD3CD00A4, 0x06921940
.long 0xE0541000, 0x3D0C6A5F
.long 0xD3CD00A8, 0x06A21D40
.long 0xD3CD00AC, 0x06B20142
.long 0xD3CD00B0, 0x06C20542
.long 0xD3CD00B4, 0x06D20942
.long 0xD3CD00B8, 0x06E20D42
.long 0xD3CD00BC, 0x06F21142
.long 0xD3CD00C0, 0x07021542
	;; [unrolled: 12-line block ×3, first 2 shown]
.long 0xD3CD00E8, 0x07A21D44
.long 0xBF8C0F7E
.long 0xD89A0660, 0x00006E5D
.long 0xBF8CC87F
.long 0xD1ED0000, 0x00E2291C
.long 0xD1ED0001, 0x00E2492C
	;; [unrolled: 1-line block ×26, first 2 shown]
.long 0xBF8C0F7E
.long 0xD89A0880, 0x0000705D
.long 0xD3CD8024, 0x04920548
.long 0xE0541000, 0x400C705F
.long 0xD3CD8028, 0x04A20948
.long 0xD3CD802C, 0x04B20D48
.long 0xD3CD8030, 0x04C21148
.long 0xD3CD8034, 0x04D21548
.long 0xD3CD8038, 0x04E21948
.long 0xD3CD803C, 0x04F21D48
.long 0xD3CD8040, 0x0502014A
.long 0xD3CD8044, 0x0512054A
.long 0xBF8C0F7E
.long 0xD89A0AA0, 0x0000725D
.long 0xD3CD8048, 0x0522094A
.long 0xE0541000, 0x410C725F
.long 0xD3CD804C, 0x05320D4A
.long 0xD3CD8050, 0x0542114A
.long 0xD3CD8054, 0x0552154A
.long 0xD3CD8058, 0x0562194A
.long 0xD3CD805C, 0x05721D4A
.long 0xD3CD8060, 0x0582014C
.long 0xD3CD8064, 0x0592054C
.long 0xD3CD8068, 0x05A2094C
	;; [unrolled: 12-line block ×3, first 2 shown]
.long 0xD3CD8090, 0x0642114E
.long 0xBF8C0F7E
.long 0xD89A0EE0, 0x0000765D
.long 0xD3CD8094, 0x0652154E
.long 0xE0541000, 0x430C765F
.long 0xD3CD8098, 0x0662194E
.long 0xD3CD809C, 0x06721D4E
.long 0xD3CD80A0, 0x06820150
.long 0xD3CD80A4, 0x06920550
.long 0xD3CD80A8, 0x06A20950
.long 0xD3CD80AC, 0x06B20D50
.long 0xD3CD80B0, 0x06C21150
.long 0xD3CD80B4, 0x06D21550
.long 0xBF8C0F7E
.long 0xD89A1100, 0x0000785D
.long 0xD3CD80B8, 0x06E21950
.long 0xE0541000, 0x440C785F
.long 0xD3CD80BC, 0x06F21D50
.long 0xD3CD80C0, 0x07020152
.long 0xD3CD80C4, 0x07120552
.long 0xD3CD80C8, 0x07220952
.long 0xD3CD80CC, 0x07320D52
.long 0xD3CD80D0, 0x07421152
.long 0xD3CD80D4, 0x07521552
	;; [unrolled: 12-line block ×3, first 2 shown]
.long 0xD3CD80FC, 0x07F21D54
.long 0xBF8C0F7E
.long 0xD89A1540, 0x00007C5D
.long 0xD3CD008C, 0x06320156
	;; [unrolled: 1-line block ×5, first 2 shown]
.long 0xBF8CC07F
.long 0xBF8A0000
.long 0xD3CD0098, 0x06620D56
.long 0xD9FE0000, 0x1000007E
	;; [unrolled: 1-line block ×36, first 2 shown]
.long 0x80858105
.long 0xBF008205
	;; [unrolled: 1-line block ×4, first 2 shown]
.long 0xD1ED0000, 0x00E22118
.long 0xD1ED0001, 0x00E24128
.long 0xD1ED0002, 0x00E62118
.long 0xD1ED0003, 0x00E64128
.long 0xD1ED0004, 0x00E22319
.long 0xD3CD8000, 0x04020130
.long 0xD9FE2000, 0x1400007E
.long 0x802C0B2C
.long 0xD1ED0005, 0x00E24329
.long 0xD1ED0006, 0x00E62319
.long 0xD1ED0007, 0x00E64329
.long 0xD1ED0008, 0x00E2251A
.long 0xD1ED0009, 0x00E2452A
.long 0xD3CD8004, 0x04120530
.long 0xD9FE2200, 0x1C00007E
.long 0x822D802D
	;; [unrolled: 8-line block ×3, first 2 shown]
.long 0xD1ED000F, 0x00E6472B
.long 0xD3CD800C, 0x04320D30
	;; [unrolled: 1-line block ×3, first 2 shown]
.long 0x82B58035
.long 0xD3CD8010, 0x04421130
.long 0xD8EC0020, 0x4600007F
.long 0xBF068035
.long 0xD3CD8014, 0x04521530
.long 0xD8EC08A0, 0x4800007F
	;; [unrolled: 3-line block ×9, first 2 shown]
.long 0xD3CD8034, 0x04D21532
.long 0xD8EC4CA0, 0x5800007F
.long 0xD3CD8038, 0x04E21932
.long 0xD8EC5520, 0x5A00007F
.long 0xD3CD803C, 0x04F21D32
.long 0xD3CD8040, 0x05020134
.long 0xD3CD8044, 0x05120534
.long 0xD3CD8048, 0x05220934
.long 0xD3CD804C, 0x05320D34
.long 0xD3CD8050, 0x05421134
.long 0xD3CD8054, 0x05521534
.long 0xD3CD8058, 0x05621934
.long 0xD3CD805C, 0x05721D34
.long 0xBF8CC07F
.long 0xBF8A0000
.long 0xD3CD8060, 0x05820136
.long 0xBF8C0F7E
.long 0x7F007160
.long 0xD3CD8064, 0x05920536
.long 0x7F0CACF9, 0x00040680
.long 0x7F0414F9, 0x00061486
.long 0x7F0414F9, 0x00061587
.long 0xD3CD8068, 0x05A20936
.long 0x7F0CACF9, 0x00050680
.long 0x7F0614F9, 0x00061486
.long 0x7F0614F9, 0x00061587
.long 0xD3CD806C, 0x05B20D36
.long 0x7F0CACF9, 0x00040681
.long 0x7F0814F9, 0x00061486
.long 0x7F0814F9, 0x00061587
.long 0xD3CD8070, 0x05C21136
.long 0x7F0CACF9, 0x00050681
.long 0x7F0A14F9, 0x00061486
.long 0x7F0A14F9, 0x00061587
.long 0xD3CD8074, 0x05D21536
.long 0xD9BE0000, 0x0000825C
.long 0xD3CD8078, 0x05E21936
.long 0xD3CD807C, 0x05F21D36
.long 0xD3CD8080, 0x06020138
.long 0xD3CD8084, 0x06120538
.long 0xBF8C0F7D
.long 0x7F007162
.long 0xD3CD8088, 0x06220938
.long 0x7F0CACF9, 0x00040680
.long 0x7F0414F9, 0x00061486
.long 0x7F0414F9, 0x00061587
.long 0xD3CD808C, 0x06320D38
.long 0x7F0CACF9, 0x00050680
.long 0x7F0614F9, 0x00061486
.long 0x7F0614F9, 0x00061587
.long 0xD3CD8090, 0x06421138
.long 0x7F0CACF9, 0x00040681
.long 0x7F0814F9, 0x00061486
.long 0x7F0814F9, 0x00061587
.long 0xD3CD8094, 0x06521538
.long 0x7F0CACF9, 0x00050681
.long 0x7F0A14F9, 0x00061486
.long 0x7F0A14F9, 0x00061587
.long 0xD3CD8098, 0x06621938
.long 0xD9BE0400, 0x0000825C
.long 0xD3CD809C, 0x06721D38
.long 0xD3CD80A0, 0x0682013A
.long 0xD3CD80A4, 0x0692053A
	;; [unrolled: 24-line block ×4, first 2 shown]
.long 0xD3CD80F0, 0x07C2113E
.long 0xBF8C0F7A
.long 0xD89A0000, 0x0000685D
.long 0xD3CD80F4, 0x07D2153E
.long 0xD3CD80F8, 0x07E2193E
.long 0xD3CD80FC, 0x07F21D3E
.long 0xD3CD008C, 0x06320140
.long 0xD3CD0090, 0x06420540
.long 0xD3CD0094, 0x06520940
.long 0xD3CD0098, 0x06620D40
.long 0xD3CD009C, 0x06721140
.long 0xD3CD00A0, 0x06821540
.long 0xBF8C0F79
.long 0xD89A0220, 0x00006A5D
.long 0xD3CD00A4, 0x06921940
.long 0xD3CD00A8, 0x06A21D40
.long 0xD3CD00AC, 0x06B20142
.long 0xD3CD00B0, 0x06C20542
.long 0xD3CD00B4, 0x06D20942
.long 0xD3CD00B8, 0x06E20D42
.long 0xD3CD00BC, 0x06F21142
.long 0xD3CD00C0, 0x07021542
	;; [unrolled: 11-line block ×3, first 2 shown]
.long 0xD3CD00E8, 0x07A21D44
.long 0xBF8C0F77
.long 0xD89A0660, 0x00006E5D
.long 0xBF8CC87F
.long 0xD1ED0000, 0x00E2291C
.long 0xD1ED0001, 0x00E2492C
.long 0xD1ED0002, 0x00E6291C
.long 0xD1ED0003, 0x00E6492C
.long 0xD1ED0004, 0x00E22B1D
.long 0xD3CD8000, 0x04020146
.long 0xD1ED0005, 0x00E24B2D
.long 0xD1ED0006, 0x00E62B1D
.long 0xD1ED0007, 0x00E64B2D
.long 0xD1ED0008, 0x00E22D1E
.long 0xD1ED0009, 0x00E24D2E
.long 0xD3CD8004, 0x04120546
.long 0xD1ED000A, 0x00E62D1E
.long 0xD1ED000B, 0x00E64D2E
.long 0xD1ED000C, 0x00E22F1F
.long 0xD1ED000D, 0x00E24F2F
.long 0xD1ED000E, 0x00E62F1F
.long 0xD3CD8008, 0x04220946
.long 0xD1ED000F, 0x00E64F2F
.long 0xD3CD800C, 0x04320D46
.long 0xD3CD8010, 0x04421146
.long 0xD3CD8014, 0x04521546
.long 0xD3CD8018, 0x04621946
.long 0xD3CD801C, 0x04721D46
.long 0xD3CD8020, 0x04820148
.long 0xBF8C0F76
.long 0xD89A0880, 0x0000705D
.long 0xD3CD8024, 0x04920548
.long 0xD3CD8028, 0x04A20948
.long 0xD3CD802C, 0x04B20D48
.long 0xD3CD8030, 0x04C21148
.long 0xD3CD8034, 0x04D21548
.long 0xD3CD8038, 0x04E21948
.long 0xD3CD803C, 0x04F21D48
.long 0xD3CD8040, 0x0502014A
.long 0xD3CD8044, 0x0512054A
.long 0xBF8C0F75
.long 0xD89A0AA0, 0x0000725D
.long 0xD3CD8048, 0x0522094A
.long 0xD3CD804C, 0x05320D4A
.long 0xD3CD8050, 0x0542114A
.long 0xD3CD8054, 0x0552154A
.long 0xD3CD8058, 0x0562194A
.long 0xD3CD805C, 0x05721D4A
.long 0xD3CD8060, 0x0582014C
.long 0xD3CD8064, 0x0592054C
.long 0xD3CD8068, 0x05A2094C
	;; [unrolled: 11-line block ×3, first 2 shown]
.long 0xD3CD8090, 0x0642114E
.long 0xBF8C0F73
.long 0xD89A0EE0, 0x0000765D
.long 0xD3CD8094, 0x0652154E
.long 0xD3CD8098, 0x0662194E
.long 0xD3CD809C, 0x06721D4E
.long 0xD3CD80A0, 0x06820150
.long 0xD3CD80A4, 0x06920550
.long 0xD3CD80A8, 0x06A20950
.long 0xD3CD80AC, 0x06B20D50
.long 0xD3CD80B0, 0x06C21150
.long 0xD3CD80B4, 0x06D21550
.long 0xBF8C0F72
.long 0xD89A1100, 0x0000785D
.long 0xD3CD80B8, 0x06E21950
.long 0xD3CD80BC, 0x06F21D50
.long 0xD3CD80C0, 0x07020152
.long 0xD3CD80C4, 0x07120552
.long 0xD3CD80C8, 0x07220952
.long 0xD3CD80CC, 0x07320D52
.long 0xD3CD80D0, 0x07421152
.long 0xD3CD80D4, 0x07521552
	;; [unrolled: 11-line block ×3, first 2 shown]
.long 0xD3CD80FC, 0x07F21D54
.long 0xBF8C0F70
.long 0xD89A1540, 0x00007C5D
.long 0xD3CD008C, 0x06320156
	;; [unrolled: 1-line block ×4, first 2 shown]
.long 0xBF8CC07F
.long 0xBF8A0000
.long 0xD3CD0098, 0x06620D56
.long 0xD9FE0000, 0x1000007E
	;; [unrolled: 1-line block ×36, first 2 shown]
.long 0xBF8CC07F
.long 0xD1ED0000, 0x00E22118
.long 0xD1ED0001, 0x00E24128
.long 0xD1ED0002, 0x00E62118
.long 0xD1ED0003, 0x00E64128
.long 0xD1ED0004, 0x00E22319
.long 0xD3CD8000, 0x04020130
.long 0xD9FE2000, 0x1400007E
.long 0xD1ED0005, 0x00E24329
.long 0xD1ED0006, 0x00E62319
.long 0xD1ED0007, 0x00E64329
.long 0xD1ED0008, 0x00E2251A
.long 0xD1ED0009, 0x00E2452A
.long 0xD3CD8004, 0x04120530
.long 0xD9FE2200, 0x1C00007E
.long 0xD1ED000A, 0x00E6251A
.long 0xD1ED000B, 0x00E6452A
.long 0xD1ED000C, 0x00E2271B
.long 0xD1ED000D, 0x00E2472B
.long 0xD1ED000E, 0x00E6271B
.long 0xD3CD8008, 0x04220930
.long 0xD9FE2400, 0x2400007E
.long 0xD1ED000F, 0x00E6472B
.long 0xD3CD800C, 0x04320D30
.long 0xD9FE2600, 0x2C00007E
.long 0xD3CD8010, 0x04421130
.long 0xD8EC0020, 0x4600007F
.long 0xD3CD8014, 0x04521530
.long 0xD8EC08A0, 0x4800007F
.long 0xD3CD8018, 0x04621930
.long 0xD8EC1120, 0x4A00007F
.long 0xD3CD801C, 0x04721D30
.long 0xD8EC19A0, 0x4C00007F
.long 0xD3CD8020, 0x04820132
.long 0xD8EC2220, 0x4E00007F
.long 0xD3CD8024, 0x04920532
.long 0xD8EC2AA0, 0x5000007F
.long 0xD3CD8028, 0x04A20932
.long 0xD8EC3320, 0x5200007F
.long 0xD3CD802C, 0x04B20D32
.long 0xD8EC3BA0, 0x5400007F
.long 0xD3CD8030, 0x04C21132
.long 0xD8EC4420, 0x5600007F
.long 0xD3CD8034, 0x04D21532
.long 0xD8EC4CA0, 0x5800007F
.long 0xD3CD8038, 0x04E21932
.long 0xD8EC5520, 0x5A00007F
.long 0xD3CD803C, 0x04F21D32
.long 0xD3CD8040, 0x05020134
.long 0xD3CD8044, 0x05120534
.long 0xD3CD8048, 0x05220934
.long 0xD3CD804C, 0x05320D34
.long 0xD3CD8050, 0x05421134
.long 0xD3CD8054, 0x05521534
.long 0xD3CD8058, 0x05621934
.long 0xD3CD805C, 0x05721D34
.long 0xD3CD8060, 0x05820136
.long 0xD3CD8064, 0x05920536
.long 0xD3CD8068, 0x05A20936
.long 0xD3CD806C, 0x05B20D36
.long 0xD3CD8070, 0x05C21136
.long 0xD3CD8074, 0x05D21536
.long 0xD3CD8078, 0x05E21936
.long 0xD3CD807C, 0x05F21D36
.long 0xD3CD8080, 0x06020138
.long 0xD3CD8084, 0x06120538
.long 0xD3CD8088, 0x06220938
.long 0xD3CD808C, 0x06320D38
.long 0xD3CD8090, 0x06421138
.long 0xD3CD8094, 0x06521538
.long 0xD3CD8098, 0x06621938
.long 0xD3CD809C, 0x06721D38
.long 0xD3CD80A0, 0x0682013A
.long 0xD3CD80A4, 0x0692053A
.long 0xD3CD80A8, 0x06A2093A
.long 0xD3CD80AC, 0x06B20D3A
.long 0xD3CD80B0, 0x06C2113A
.long 0xD3CD80B4, 0x06D2153A
.long 0xD3CD80B8, 0x06E2193A
.long 0xD3CD80BC, 0x06F21D3A
.long 0xD3CD80C0, 0x0702013C
.long 0xD3CD80C4, 0x0712053C
.long 0xD3CD80C8, 0x0722093C
.long 0xD3CD80CC, 0x07320D3C
.long 0xD3CD80D0, 0x0742113C
.long 0xD3CD80D4, 0x0752153C
.long 0xD3CD80D8, 0x0762193C
.long 0xD3CD80DC, 0x07721D3C
.long 0xD3CD80E0, 0x0782013E
.long 0xD3CD80E4, 0x0792053E
.long 0xD3CD80E8, 0x07A2093E
.long 0xD3CD80EC, 0x07B20D3E
.long 0xD3CD80F0, 0x07C2113E
.long 0xD3CD80F4, 0x07D2153E
.long 0xD3CD80F8, 0x07E2193E
.long 0xD3CD80FC, 0x07F21D3E
.long 0xD3CD008C, 0x06320140
.long 0xD3CD0090, 0x06420540
.long 0xD3CD0094, 0x06520940
.long 0xD3CD0098, 0x06620D40
.long 0xD3CD009C, 0x06721140
.long 0xD3CD00A0, 0x06821540
.long 0xD3CD00A4, 0x06921940
.long 0xD3CD00A8, 0x06A21D40
.long 0xD3CD00AC, 0x06B20142
.long 0xD3CD00B0, 0x06C20542
.long 0xD3CD00B4, 0x06D20942
.long 0xD3CD00B8, 0x06E20D42
.long 0xD3CD00BC, 0x06F21142
.long 0xD3CD00C0, 0x07021542
.long 0xD3CD00C4, 0x07121942
.long 0xD3CD00C8, 0x07221D42
.long 0xD3CD00CC, 0x07320144
.long 0xD3CD00D0, 0x07420544
.long 0xD3CD00D4, 0x07520944
.long 0xD3CD00D8, 0x07620D44
.long 0xD3CD00DC, 0x07721144
.long 0xD3CD00E0, 0x07821544
.long 0xBF8CC07F
.long 0xBF8A0000
.long 0xD3CD00E4, 0x07921944
.long 0xD3CD00E8, 0x07A21D44
.long 0xBF8CC07F
.long 0xD1ED0000, 0x00E2291C
.long 0xD1ED0001, 0x00E2492C
.long 0xD1ED0002, 0x00E6291C
.long 0xD1ED0003, 0x00E6492C
.long 0xD1ED0004, 0x00E22B1D
.long 0xD3CD8000, 0x04020146
.long 0xD1ED0005, 0x00E24B2D
.long 0xD1ED0006, 0x00E62B1D
.long 0xD1ED0007, 0x00E64B2D
.long 0xD1ED0008, 0x00E22D1E
.long 0xD1ED0009, 0x00E24D2E
.long 0xD3CD8004, 0x04120546
.long 0xD1ED000A, 0x00E62D1E
.long 0xD1ED000B, 0x00E64D2E
.long 0xD1ED000C, 0x00E22F1F
.long 0xD1ED000D, 0x00E24F2F
.long 0xD1ED000E, 0x00E62F1F
.long 0xD3CD8008, 0x04220946
.long 0xD1ED000F, 0x00E64F2F
.long 0xD3CD800C, 0x04320D46
.long 0xD3CD8010, 0x04421146
.long 0xD3CD8014, 0x04521546
.long 0xD3CD8018, 0x04621946
.long 0xD3CD801C, 0x04721D46
.long 0xD3CD8020, 0x04820148
.long 0xD3CD8024, 0x04920548
.long 0xD3CD8028, 0x04A20948
.long 0xD3CD802C, 0x04B20D48
.long 0xD3CD8030, 0x04C21148
.long 0xD3CD8034, 0x04D21548
.long 0xD3CD8038, 0x04E21948
.long 0xD3CD803C, 0x04F21D48
.long 0xD3CD8040, 0x0502014A
.long 0xD3CD8044, 0x0512054A
.long 0xD3CD8048, 0x0522094A
.long 0xD3CD804C, 0x05320D4A
.long 0xD3CD8050, 0x0542114A
.long 0xD3CD8054, 0x0552154A
.long 0xD3CD8058, 0x0562194A
.long 0xD3CD805C, 0x05721D4A
.long 0xD3CD8060, 0x0582014C
.long 0xD3CD8064, 0x0592054C
.long 0xD3CD8068, 0x05A2094C
.long 0xD3CD806C, 0x05B20D4C
.long 0xD3CD8070, 0x05C2114C
.long 0xD3CD8074, 0x05D2154C
.long 0xD3CD8078, 0x05E2194C
.long 0xD3CD807C, 0x05F21D4C
.long 0xD3CD8080, 0x0602014E
.long 0xD3CD8084, 0x0612054E
.long 0xD3CD8088, 0x0622094E
.long 0xD3CD808C, 0x06320D4E
.long 0xD3CD8090, 0x0642114E
.long 0xD3CD8094, 0x0652154E
.long 0xD3CD8098, 0x0662194E
.long 0xD3CD809C, 0x06721D4E
.long 0xD3CD80A0, 0x06820150
.long 0xD3CD80A4, 0x06920550
.long 0xD3CD80A8, 0x06A20950
.long 0xD3CD80AC, 0x06B20D50
.long 0xD3CD80B0, 0x06C21150
.long 0xD3CD80B4, 0x06D21550
.long 0xD3CD80B8, 0x06E21950
.long 0xD3CD80BC, 0x06F21D50
.long 0xD3CD80C0, 0x07020152
.long 0xD3CD80C4, 0x07120552
.long 0xD3CD80C8, 0x07220952
.long 0xD3CD80CC, 0x07320D52
.long 0xD3CD80D0, 0x07421152
.long 0xD3CD80D4, 0x07521552
.long 0xD3CD80D8, 0x07621952
.long 0xD3CD80DC, 0x07721D52
.long 0xD3CD80E0, 0x07820154
.long 0xD3CD80E4, 0x07920554
.long 0xD3CD80E8, 0x07A20954
.long 0xD3CD80EC, 0x07B20D54
.long 0xD3CD80F0, 0x07C21154
.long 0xD3CD80F4, 0x07D21554
.long 0xD3CD80F8, 0x07E21954
.long 0xD3CD80FC, 0x07F21D54
.long 0xD3CD008C, 0x06320156
.long 0xD3CD0090, 0x06420556
.long 0xD3CD0094, 0x06520956
.long 0xD3CD0098, 0x06620D56
.long 0xD3CD009C, 0x06721156
.long 0xD3CD00A0, 0x06821556
.long 0xD3CD00A4, 0x06921956
.long 0xD3CD00A8, 0x06A21D56
.long 0xD3CD00AC, 0x06B20158
.long 0xD3CD00B0, 0x06C20558
.long 0xD3CD00B4, 0x06D20958
.long 0xD3CD00B8, 0x06E20D58
.long 0xD3CD00BC, 0x06F21158
.long 0xD3CD00C0, 0x07021558
.long 0xD3CD00C4, 0x07121958
.long 0xD3CD00C8, 0x07221D58
.long 0xD3CD00CC, 0x0732015A
.long 0xD3CD00D0, 0x0742055A
.long 0xD3CD00D4, 0x0752095A
.long 0xD3CD00D8, 0x07620D5A
.long 0xD3CD00DC, 0x0772115A
.long 0xD3CD00E0, 0x0782155A
.long 0xD3CD00E4, 0x0792195A
.long 0xD3CD00E8, 0x07A21D5A
.long 0x8605179F
.long 0xBF068005
.long 0xBE880080
.long 0xBF85034C
.long 0xE0801000, 0x800B605E
.long 0xE0801001, 0x800B005E
.long 0xE0841002, 0x800B015E
.long 0xE0841003, 0x800B025E
.long 0xE0801004, 0x800B615E
.long 0xE0801005, 0x800B045E
.long 0xE0841006, 0x800B055E
.long 0xE0841007, 0x800B065E
.long 0xBF8C0F76
.long 0x24000088
.long 0x28C00160
.long 0xBF8C0F75
.long 0x28C00360
.long 0xBF8C0F74
.long 0x24040488
.long 0x28C00560
.long 0xBF8C0F72
.long 0x24080888
.long 0x28C20961
.long 0xBF8C0F71
.long 0x28C20B61
.long 0xBF8C0F70
.long 0x240C0C88
.long 0x28C20D61
.long 0xE0801000, 0x3A0B625E
.long 0xE0801001, 0x3A0B005E
.long 0xE0841002, 0x3A0B015E
.long 0xE0841003, 0x3A0B025E
.long 0xE0801004, 0x3A0B635E
.long 0xE0801005, 0x3A0B045E
.long 0xE0841006, 0x3A0B055E
.long 0xE0841007, 0x3A0B065E
.long 0xBF8C0F76
.long 0x24000088
.long 0x28C40162
.long 0xBF8C0F75
.long 0x28C40362
.long 0xBF8C0F74
.long 0x24040488
.long 0x28C40562
.long 0xBF8C0F72
.long 0x24080888
.long 0x28C60963
.long 0xBF8C0F71
	;; [unrolled: 24-line block ×4, first 2 shown]
.long 0x28CE0B67
.long 0xBF8C0F70
	;; [unrolled: 1-line block ×4, first 2 shown]
.long 0xE0901000, 0x800C685F
.long 0xE0941002, 0x800C005F
.long 0xBF8C0F70
.long 0x28D00168
.long 0xE0901004, 0x800C695F
.long 0xE0941006, 0x800C005F
.long 0xBF8C0F70
.long 0x28D20169
	;; [unrolled: 4-line block ×22, first 2 shown]
.long 0xBF8C0F70
.long 0xBF8A0000
	;; [unrolled: 1-line block ×3, first 2 shown]
.long 0x7F0CACF9, 0x00040680
.long 0x7F0414F9, 0x00061486
.long 0x7F0414F9, 0x00061587
.long 0x7F0CACF9, 0x00050680
.long 0x7F0614F9, 0x00061486
.long 0x7F0614F9, 0x00061587
.long 0x7F0CACF9, 0x00040681
.long 0x7F0814F9, 0x00061486
.long 0x7F0814F9, 0x00061587
.long 0x7F0CACF9, 0x00050681
.long 0x7F0A14F9, 0x00061486
.long 0x7F0A14F9, 0x00061587
.long 0xD9BE0000, 0x0000825C
.long 0x7F007162
.long 0x7F0CACF9, 0x00040680
.long 0x7F0414F9, 0x00061486
.long 0x7F0414F9, 0x00061587
.long 0x7F0CACF9, 0x00050680
.long 0x7F0614F9, 0x00061486
.long 0x7F0614F9, 0x00061587
.long 0x7F0CACF9, 0x00040681
.long 0x7F0814F9, 0x00061486
.long 0x7F0814F9, 0x00061587
.long 0x7F0CACF9, 0x00050681
.long 0x7F0A14F9, 0x00061486
.long 0x7F0A14F9, 0x00061587
.long 0xD9BE0400, 0x0000825C
.long 0x7F007164
	;; [unrolled: 14-line block ×3, first 2 shown]
.long 0x7F0CACF9, 0x00040680
.long 0x7F0414F9, 0x00061486
	;; [unrolled: 1-line block ×24, first 2 shown]
.long 0xBF8CC07F
.long 0xBF8A0000
.long 0xD9FE0000, 0x1000007E
.long 0xD9FE0200, 0x1800007E
	;; [unrolled: 1-line block ×16, first 2 shown]
.long 0x32FCFC47
.long 0xBEC700A0
	;; [unrolled: 1-line block ×4, first 2 shown]
.long 0xD1ED0000, 0x00E22118
.long 0xD1ED0001, 0x00E24128
	;; [unrolled: 1-line block ×16, first 2 shown]
.long 0x26B910BF
.long 0x20B8B884
	;; [unrolled: 1-line block ×3, first 2 shown]
.long 0xD0C60048, 0x00000B5C
.long 0xD1000000, 0x01210100
	;; [unrolled: 1-line block ×39, first 2 shown]
.long 0x6AB8B805
.long 0xD0C10048, 0x0001095C
.long 0x864A8305
.long 0x80CA4A84
.long 0x8E4A844A
.long 0xD28F005E, 0x0002004A
.long 0xD1000000, 0x0122BD00
	;; [unrolled: 1-line block ×57, first 2 shown]
.long 0xBF800001
.long 0xD3CD8000, 0x04020130
.long 0xD3CD8004, 0x04120530
	;; [unrolled: 1-line block ×88, first 2 shown]
.long 0x81859005
.long 0x80089008
	;; [unrolled: 1-line block ×6, first 2 shown]
.long 0xC00E0B00, 0x00000058
.long 0xC00A0D00, 0x00000078
	;; [unrolled: 1-line block ×3, first 2 shown]
.long 0xBF82000A
.long 0xC00A0B03, 0x00000070
.long 0xC00A0C03, 0x00000090
.long 0xC0060D03, 0x000000A0
.long 0xC0060D83, 0x000000B8
.long 0xC0020E03, 0x000000C0
.long 0x20091086
.long 0x200A0881
.long 0xD2850005, 0x00020A90
.long 0x260310BF
.long 0x20020284
	;; [unrolled: 1-line block ×3, first 2 shown]
.long 0xD1FE0001, 0x02020305
.long 0xD2850002, 0x00004501
.long 0xD2850003, 0x00004101
.long 0x26000881
.long 0xD2850000, 0x00020090
.long 0x260B108F
.long 0xD1FE0000, 0x020E0105
.long 0x922B02FF, 0x00000100
.long 0x6800002B
.long 0x922B03FF, 0x00000160
.long 0x6802022B
.long 0xBF8CC07F
	;; [unrolled: 1-line block ×5, first 2 shown]
.long 0xC0020AD6, 0x00000000
.long 0xBEB900F2
.long 0xBF12802E
	;; [unrolled: 1-line block ×3, first 2 shown]
.long 0xC0020E57, 0x00000000
.long 0xBEBC0030
.long 0xBEBD0031
.long 0xBEBF00FF, 0x00020000
.long 0xBF128030
.long 0xBF840002
	;; [unrolled: 1-line block ×12, first 2 shown]
.long 0xBEC300FF, 0x00020000
.long 0xBF128032
.long 0xBF840002
	;; [unrolled: 1-line block ×8, first 2 shown]
.long 0x923A02FF, 0x00000100
.long 0x6811103A
.long 0x923A0435
	;; [unrolled: 1-line block ×4, first 2 shown]
.long 0xE0501000, 0x80100408
.long 0x24111082
.long 0xBF8C0F70
.long 0xBF8A0000
.long 0xD81A0000, 0x00000408
.long 0xBF820012
.long 0xB4B40004
.long 0xBF850010
.long 0x92424282
.long 0x923A02FF, 0x00000100
.long 0x6811103A
	;; [unrolled: 5-line block ×4, first 2 shown]
.long 0x7E080228
.long 0xBF8CC07F
.long 0xD1050004, 0x00005704
.long 0xD1050004, 0x00007304
.long 0xBF800000
.long 0x7E500504
	;; [unrolled: 1-line block ×19, first 2 shown]
.long 0x812B84FF, 0x00014484
.long 0x803A2B3A
.long 0x823B803B
.long 0xBF820030
.long 0xBEBA1C00
.long 0x812B84FF, 0x00014470
.long 0x803A2B3A
.long 0x823B803B
.long 0xBF82002A
.long 0xBEBA1C00
	;; [unrolled: 5-line block ×9, first 2 shown]
.long 0xBF84246C
.long 0x864614FF, 0x000000FF
.long 0x804709C1
.long 0xBF094702
	;; [unrolled: 1-line block ×6, first 2 shown]
.long 0x924815FF, 0x00000174
.long 0x8EC89048
.long 0x9247FF15, 0x00005D18
.long 0x80484847
.long 0x82498049
	;; [unrolled: 1-line block ×4, first 2 shown]
.long 0x9248FF47, 0x00000160
.long 0x80C64815
.long 0x80470AC1
	;; [unrolled: 1-line block ×6, first 2 shown]
.long 0x924602FF, 0x00000100
.long 0xD135000F, 0x00008D00
.long 0x241E1E82
.long 0xBF8CC07F
.long 0xBF8A0000
.long 0xD9FE0000, 0x1800000F
.long 0xD9FE0010, 0x1C00000F
.long 0x24200082
.long 0xE05C1000, 0x800F2010
.long 0xE05C1010, 0x800F2410
	;; [unrolled: 1-line block ×35, first 2 shown]
.long 0xBF800001
.long 0x0A505028
	;; [unrolled: 1-line block ×34, first 2 shown]
.long 0xD0CC0030, 0x0001003E
.long 0xD1000020, 0x00C240F2
	;; [unrolled: 1-line block ×20, first 2 shown]
.long 0xBEC41E3A
.long 0x7E500304
	;; [unrolled: 1-line block ×11, first 2 shown]
.long 0xD2A00028, 0x00025328
.long 0x7E54152A
.long 0x7E56152B
.long 0xD2A00029, 0x0002572A
.long 0x7E58152C
.long 0x7E5A152D
	;; [unrolled: 3-line block ×3, first 2 shown]
.long 0xD2A0002B, 0x00025F2E
.long 0xE07C1000, 0x8003280D
	;; [unrolled: 1-line block ×22, first 2 shown]
.long 0xBEC41E3A
.long 0x7E600304
	;; [unrolled: 1-line block ×11, first 2 shown]
.long 0xD2A00030, 0x00026330
.long 0x7E641532
.long 0x7E661533
.long 0xD2A00031, 0x00026732
.long 0x7E681534
.long 0x7E6A1535
	;; [unrolled: 3-line block ×4, first 2 shown]
.long 0x820D800D
.long 0xE07C1000, 0x8003300D
.long 0xD0CC0030, 0x0001003E
	;; [unrolled: 1-line block ×21, first 2 shown]
.long 0xBEC41E3A
.long 0x7E700304
	;; [unrolled: 1-line block ×11, first 2 shown]
.long 0xD2A00038, 0x00027338
.long 0x7E74153A
.long 0x7E76153B
.long 0xD2A00039, 0x0002773A
.long 0x7E78153C
.long 0x7E7A153D
	;; [unrolled: 3-line block ×4, first 2 shown]
.long 0x820D800D
.long 0xE07C1000, 0x8003380D
.long 0xD0CC0030, 0x0001003E
	;; [unrolled: 1-line block ×21, first 2 shown]
.long 0xBEC41E3A
.long 0x7E800304
	;; [unrolled: 1-line block ×11, first 2 shown]
.long 0xD2A00040, 0x00028340
.long 0x7E841542
.long 0x7E861543
.long 0xD2A00041, 0x00028742
.long 0x7E881544
.long 0x7E8A1545
	;; [unrolled: 3-line block ×4, first 2 shown]
.long 0x820D800D
.long 0xE07C1000, 0x8003400D
.long 0xBF800000
.long 0x924602FF, 0x00000100
.long 0xD135000F, 0x00008D00
.long 0x241E1E82
.long 0xD9FE0000, 0x1800000F
.long 0xD9FE0010, 0x1C00000F
	;; [unrolled: 1-line block ×36, first 2 shown]
.long 0xBF800001
.long 0x0A505028
.long 0x0A525228
.long 0x0A545428
.long 0x0A565628
.long 0x0A585828
.long 0x0A5A5A28
.long 0x0A5C5C28
.long 0x0A5E5E28
.long 0x0A606028
.long 0x0A626228
.long 0x0A646428
.long 0x0A666628
.long 0x0A686828
.long 0x0A6A6A28
.long 0x0A6C6C28
.long 0x0A6E6E28
.long 0x0A707028
.long 0x0A727228
.long 0x0A747428
.long 0x0A767628
.long 0x0A787828
.long 0x0A7A7A28
.long 0x0A7C7C28
.long 0x0A7E7E28
.long 0x0A808028
.long 0x0A828228
.long 0x0A848428
.long 0x0A868628
.long 0x0A888828
.long 0x0A8A8A28
.long 0x0A8C8C28
.long 0x0A8E8E28
.long 0xBF8C0000
.long 0xD0CC0030, 0x0001003E
.long 0xD1000020, 0x00C240F2
.long 0xD1000021, 0x00C242F2
.long 0xD3B14028, 0x18025120
.long 0xD0CC0030, 0x0001003E
.long 0xD1000022, 0x00C244F2
.long 0xD1000023, 0x00C246F2
.long 0xD3B1402A, 0x18025522
.long 0xD0CC0030, 0x0001003E
.long 0xD1000024, 0x00C248F2
.long 0xD1000025, 0x00C24AF2
.long 0xD3B1402C, 0x18025924
.long 0xD0CC0030, 0x0001003E
.long 0xD1000026, 0x00C24CF2
.long 0xD1000027, 0x00C24EF2
.long 0xD3B1402E, 0x18025D26
.long 0xD3B24004, 0x18025118
.long 0xD3B24006, 0x1802551A
.long 0xD3B24008, 0x1802591C
.long 0xD3B2400A, 0x18025D1E
.long 0xBEC41E3A
.long 0x7E500304
.long 0x7E520305
.long 0x7E540306
.long 0x7E560307
.long 0x7E580308
.long 0x7E5A0309
.long 0x7E5C030A
.long 0x7E5E030B
.long 0x7E501528
.long 0x7E521529
.long 0xD2A00028, 0x00025328
.long 0x7E54152A
.long 0x7E56152B
.long 0xD2A00029, 0x0002572A
.long 0x7E58152C
.long 0x7E5A152D
.long 0xD2A0002A, 0x00025B2C
.long 0x7E5C152E
.long 0x7E5E152F
.long 0xD2A0002B, 0x00025F2E
.long 0x9246BA20
.long 0x800C460C
.long 0x820D800D
.long 0xE07C1000, 0x8003280D
.long 0xD0CC0030, 0x0001003E
.long 0xD1000020, 0x00C240F2
.long 0xD1000021, 0x00C242F2
.long 0xD3B14030, 0x18026120
.long 0xD0CC0030, 0x0001003E
.long 0xD1000022, 0x00C244F2
.long 0xD1000023, 0x00C246F2
.long 0xD3B14032, 0x18026522
.long 0xD0CC0030, 0x0001003E
.long 0xD1000024, 0x00C248F2
.long 0xD1000025, 0x00C24AF2
.long 0xD3B14034, 0x18026924
.long 0xD0CC0030, 0x0001003E
.long 0xD1000026, 0x00C24CF2
.long 0xD1000027, 0x00C24EF2
.long 0xD3B14036, 0x18026D26
.long 0xD3B24004, 0x18026118
.long 0xD3B24006, 0x1802651A
.long 0xD3B24008, 0x1802691C
.long 0xD3B2400A, 0x18026D1E
.long 0xBEC41E3A
.long 0x7E600304
.long 0x7E620305
.long 0x7E640306
.long 0x7E660307
.long 0x7E680308
.long 0x7E6A0309
.long 0x7E6C030A
.long 0x7E6E030B
.long 0x7E601530
.long 0x7E621531
.long 0xD2A00030, 0x00026330
.long 0x7E641532
.long 0x7E661533
.long 0xD2A00031, 0x00026732
.long 0x7E681534
.long 0x7E6A1535
.long 0xD2A00032, 0x00026B34
.long 0x7E6C1536
.long 0x7E6E1537
.long 0xD2A00033, 0x00026F36
.long 0x8E468120
.long 0x800C460C
.long 0x820D800D
.long 0xE07C1000, 0x8003300D
	;; [unrolled: 45-line block ×4, first 2 shown]
.long 0xBF800000
.long 0x924602FF, 0x00000100
.long 0xD135000F, 0x00008D00
.long 0x241E1E82
.long 0xD9FE0000, 0x1800000F
.long 0xD9FE0010, 0x1C00000F
	;; [unrolled: 1-line block ×36, first 2 shown]
.long 0xBF800001
.long 0x0A505028
	;; [unrolled: 1-line block ×34, first 2 shown]
.long 0xD0CC0030, 0x0001003E
.long 0xD1000020, 0x00C240F2
.long 0xD1000021, 0x00C242F2
.long 0xD3B14028, 0x18025120
.long 0xD0CC0030, 0x0001003E
.long 0xD1000022, 0x00C244F2
.long 0xD1000023, 0x00C246F2
.long 0xD3B1402A, 0x18025522
.long 0xD0CC0030, 0x0001003E
.long 0xD1000024, 0x00C248F2
.long 0xD1000025, 0x00C24AF2
.long 0xD3B1402C, 0x18025924
.long 0xD0CC0030, 0x0001003E
.long 0xD1000026, 0x00C24CF2
.long 0xD1000027, 0x00C24EF2
.long 0xD3B1402E, 0x18025D26
.long 0xD3B24004, 0x18025118
.long 0xD3B24006, 0x1802551A
.long 0xD3B24008, 0x1802591C
.long 0xD3B2400A, 0x18025D1E
.long 0xBEC41E3A
.long 0x7E500304
.long 0x7E520305
.long 0x7E540306
.long 0x7E560307
.long 0x7E580308
.long 0x7E5A0309
.long 0x7E5C030A
.long 0x7E5E030B
.long 0x7E501528
.long 0x7E521529
.long 0xD2A00028, 0x00025328
.long 0x7E54152A
.long 0x7E56152B
.long 0xD2A00029, 0x0002572A
.long 0x7E58152C
.long 0x7E5A152D
.long 0xD2A0002A, 0x00025B2C
.long 0x7E5C152E
.long 0x7E5E152F
.long 0xD2A0002B, 0x00025F2E
.long 0x9246BA20
.long 0x800C460C
.long 0x820D800D
.long 0xE07C1000, 0x8003280D
.long 0xD0CC0030, 0x0001003E
.long 0xD1000020, 0x00C240F2
.long 0xD1000021, 0x00C242F2
.long 0xD3B14030, 0x18026120
.long 0xD0CC0030, 0x0001003E
.long 0xD1000022, 0x00C244F2
.long 0xD1000023, 0x00C246F2
.long 0xD3B14032, 0x18026522
.long 0xD0CC0030, 0x0001003E
.long 0xD1000024, 0x00C248F2
.long 0xD1000025, 0x00C24AF2
.long 0xD3B14034, 0x18026924
.long 0xD0CC0030, 0x0001003E
.long 0xD1000026, 0x00C24CF2
.long 0xD1000027, 0x00C24EF2
.long 0xD3B14036, 0x18026D26
.long 0xD3B24004, 0x18026118
.long 0xD3B24006, 0x1802651A
.long 0xD3B24008, 0x1802691C
.long 0xD3B2400A, 0x18026D1E
.long 0xBEC41E3A
.long 0x7E600304
.long 0x7E620305
.long 0x7E640306
.long 0x7E660307
.long 0x7E680308
.long 0x7E6A0309
.long 0x7E6C030A
.long 0x7E6E030B
.long 0x7E601530
.long 0x7E621531
.long 0xD2A00030, 0x00026330
.long 0x7E641532
.long 0x7E661533
.long 0xD2A00031, 0x00026732
.long 0x7E681534
.long 0x7E6A1535
.long 0xD2A00032, 0x00026B34
.long 0x7E6C1536
.long 0x7E6E1537
.long 0xD2A00033, 0x00026F36
.long 0x8E468120
.long 0x800C460C
.long 0x820D800D
.long 0xE07C1000, 0x8003300D
	;; [unrolled: 45-line block ×4, first 2 shown]
.long 0xBF800000
.long 0x924602FF, 0x00000100
.long 0xD135000F, 0x00008D00
.long 0x241E1E82
.long 0xD9FE0000, 0x1800000F
.long 0xD9FE0010, 0x1C00000F
.long 0xE05C1000, 0x800F2010
.long 0xE05C1010, 0x800F2410
.long 0xD3D84028, 0x18000160
.long 0xD3D84029, 0x18000164
.long 0xD3D8402A, 0x18000168
.long 0xD3D8402B, 0x1800016C
.long 0xD3D8402C, 0x18000170
.long 0xD3D8402D, 0x18000174
.long 0xD3D8402E, 0x18000178
.long 0xD3D8402F, 0x1800017C
.long 0xD3D84030, 0x18000161
.long 0xD3D84031, 0x18000165
.long 0xD3D84032, 0x18000169
.long 0xD3D84033, 0x1800016D
.long 0xD3D84034, 0x18000171
.long 0xD3D84035, 0x18000175
.long 0xD3D84036, 0x18000179
.long 0xD3D84037, 0x1800017D
.long 0xD3D84038, 0x18000162
.long 0xD3D84039, 0x18000166
.long 0xD3D8403A, 0x1800016A
.long 0xD3D8403B, 0x1800016E
.long 0xD3D8403C, 0x18000172
.long 0xD3D8403D, 0x18000176
.long 0xD3D8403E, 0x1800017A
.long 0xD3D8403F, 0x1800017E
.long 0xD3D84040, 0x18000163
.long 0xD3D84041, 0x18000167
.long 0xD3D84042, 0x1800016B
.long 0xD3D84043, 0x1800016F
.long 0xD3D84044, 0x18000173
.long 0xD3D84045, 0x18000177
.long 0xD3D84046, 0x1800017B
.long 0xD3D84047, 0x1800017F
.long 0xBF800001
.long 0x0A505028
	;; [unrolled: 1-line block ×34, first 2 shown]
.long 0xD0CC0030, 0x0001003E
.long 0xD1000020, 0x00C240F2
.long 0xD1000021, 0x00C242F2
.long 0xD3B14028, 0x18025120
.long 0xD0CC0030, 0x0001003E
.long 0xD1000022, 0x00C244F2
.long 0xD1000023, 0x00C246F2
.long 0xD3B1402A, 0x18025522
.long 0xD0CC0030, 0x0001003E
.long 0xD1000024, 0x00C248F2
.long 0xD1000025, 0x00C24AF2
.long 0xD3B1402C, 0x18025924
.long 0xD0CC0030, 0x0001003E
.long 0xD1000026, 0x00C24CF2
.long 0xD1000027, 0x00C24EF2
.long 0xD3B1402E, 0x18025D26
.long 0xD3B24004, 0x18025118
.long 0xD3B24006, 0x1802551A
.long 0xD3B24008, 0x1802591C
.long 0xD3B2400A, 0x18025D1E
.long 0xBEC41E3A
.long 0x7E500304
.long 0x7E520305
.long 0x7E540306
.long 0x7E560307
.long 0x7E580308
.long 0x7E5A0309
.long 0x7E5C030A
.long 0x7E5E030B
.long 0x7E501528
.long 0x7E521529
.long 0xD2A00028, 0x00025328
.long 0x7E54152A
.long 0x7E56152B
.long 0xD2A00029, 0x0002572A
.long 0x7E58152C
.long 0x7E5A152D
.long 0xD2A0002A, 0x00025B2C
.long 0x7E5C152E
.long 0x7E5E152F
.long 0xD2A0002B, 0x00025F2E
.long 0x9246BA20
.long 0x800C460C
.long 0x820D800D
.long 0xE07C1000, 0x8003280D
.long 0xD0CC0030, 0x0001003E
.long 0xD1000020, 0x00C240F2
.long 0xD1000021, 0x00C242F2
.long 0xD3B14030, 0x18026120
.long 0xD0CC0030, 0x0001003E
.long 0xD1000022, 0x00C244F2
.long 0xD1000023, 0x00C246F2
.long 0xD3B14032, 0x18026522
.long 0xD0CC0030, 0x0001003E
.long 0xD1000024, 0x00C248F2
.long 0xD1000025, 0x00C24AF2
.long 0xD3B14034, 0x18026924
.long 0xD0CC0030, 0x0001003E
.long 0xD1000026, 0x00C24CF2
.long 0xD1000027, 0x00C24EF2
.long 0xD3B14036, 0x18026D26
.long 0xD3B24004, 0x18026118
.long 0xD3B24006, 0x1802651A
.long 0xD3B24008, 0x1802691C
.long 0xD3B2400A, 0x18026D1E
.long 0xBEC41E3A
.long 0x7E600304
.long 0x7E620305
.long 0x7E640306
.long 0x7E660307
.long 0x7E680308
.long 0x7E6A0309
.long 0x7E6C030A
.long 0x7E6E030B
.long 0x7E601530
.long 0x7E621531
.long 0xD2A00030, 0x00026330
.long 0x7E641532
.long 0x7E661533
.long 0xD2A00031, 0x00026732
.long 0x7E681534
.long 0x7E6A1535
.long 0xD2A00032, 0x00026B34
.long 0x7E6C1536
.long 0x7E6E1537
.long 0xD2A00033, 0x00026F36
.long 0x8E468120
.long 0x800C460C
.long 0x820D800D
.long 0xE07C1000, 0x8003300D
	;; [unrolled: 45-line block ×4, first 2 shown]
.long 0xBF800000
.long 0x924602FF, 0x00000100
.long 0xD135000F, 0x00008D00
.long 0x241E1E82
.long 0xD9FE0000, 0x1800000F
.long 0xD9FE0010, 0x1C00000F
.long 0xE05C1000, 0x800F2010
.long 0xE05C1010, 0x800F2410
.long 0xD3D84028, 0x18000180
.long 0xD3D84029, 0x18000184
.long 0xD3D8402A, 0x18000188
.long 0xD3D8402B, 0x1800018C
.long 0xD3D8402C, 0x18000190
.long 0xD3D8402D, 0x18000194
.long 0xD3D8402E, 0x18000198
.long 0xD3D8402F, 0x1800019C
.long 0xD3D84030, 0x18000181
.long 0xD3D84031, 0x18000185
.long 0xD3D84032, 0x18000189
.long 0xD3D84033, 0x1800018D
.long 0xD3D84034, 0x18000191
.long 0xD3D84035, 0x18000195
.long 0xD3D84036, 0x18000199
.long 0xD3D84037, 0x1800019D
.long 0xD3D84038, 0x18000182
.long 0xD3D84039, 0x18000186
.long 0xD3D8403A, 0x1800018A
.long 0xD3D8403B, 0x1800018E
.long 0xD3D8403C, 0x18000192
.long 0xD3D8403D, 0x18000196
.long 0xD3D8403E, 0x1800019A
.long 0xD3D8403F, 0x1800019E
.long 0xD3D84040, 0x18000183
.long 0xD3D84041, 0x18000187
.long 0xD3D84042, 0x1800018B
.long 0xD3D84043, 0x1800018F
.long 0xD3D84044, 0x18000193
.long 0xD3D84045, 0x18000197
.long 0xD3D84046, 0x1800019B
.long 0xD3D84047, 0x1800019F
.long 0xBF800001
.long 0x0A505028
	;; [unrolled: 1-line block ×34, first 2 shown]
.long 0xD0CC0030, 0x0001003E
.long 0xD1000020, 0x00C240F2
.long 0xD1000021, 0x00C242F2
.long 0xD3B14028, 0x18025120
.long 0xD0CC0030, 0x0001003E
.long 0xD1000022, 0x00C244F2
.long 0xD1000023, 0x00C246F2
.long 0xD3B1402A, 0x18025522
.long 0xD0CC0030, 0x0001003E
.long 0xD1000024, 0x00C248F2
.long 0xD1000025, 0x00C24AF2
.long 0xD3B1402C, 0x18025924
.long 0xD0CC0030, 0x0001003E
.long 0xD1000026, 0x00C24CF2
.long 0xD1000027, 0x00C24EF2
.long 0xD3B1402E, 0x18025D26
.long 0xD3B24004, 0x18025118
.long 0xD3B24006, 0x1802551A
.long 0xD3B24008, 0x1802591C
.long 0xD3B2400A, 0x18025D1E
.long 0xBEC41E3A
.long 0x7E500304
.long 0x7E520305
.long 0x7E540306
.long 0x7E560307
.long 0x7E580308
.long 0x7E5A0309
.long 0x7E5C030A
.long 0x7E5E030B
.long 0x7E501528
.long 0x7E521529
.long 0xD2A00028, 0x00025328
.long 0x7E54152A
.long 0x7E56152B
.long 0xD2A00029, 0x0002572A
.long 0x7E58152C
.long 0x7E5A152D
.long 0xD2A0002A, 0x00025B2C
.long 0x7E5C152E
.long 0x7E5E152F
.long 0xD2A0002B, 0x00025F2E
.long 0x9246BA20
.long 0x800C460C
.long 0x820D800D
.long 0xE07C1000, 0x8003280D
.long 0xD0CC0030, 0x0001003E
.long 0xD1000020, 0x00C240F2
.long 0xD1000021, 0x00C242F2
.long 0xD3B14030, 0x18026120
.long 0xD0CC0030, 0x0001003E
.long 0xD1000022, 0x00C244F2
.long 0xD1000023, 0x00C246F2
.long 0xD3B14032, 0x18026522
.long 0xD0CC0030, 0x0001003E
.long 0xD1000024, 0x00C248F2
.long 0xD1000025, 0x00C24AF2
.long 0xD3B14034, 0x18026924
.long 0xD0CC0030, 0x0001003E
.long 0xD1000026, 0x00C24CF2
.long 0xD1000027, 0x00C24EF2
.long 0xD3B14036, 0x18026D26
.long 0xD3B24004, 0x18026118
.long 0xD3B24006, 0x1802651A
.long 0xD3B24008, 0x1802691C
.long 0xD3B2400A, 0x18026D1E
.long 0xBEC41E3A
.long 0x7E600304
.long 0x7E620305
.long 0x7E640306
.long 0x7E660307
.long 0x7E680308
.long 0x7E6A0309
.long 0x7E6C030A
.long 0x7E6E030B
.long 0x7E601530
.long 0x7E621531
.long 0xD2A00030, 0x00026330
.long 0x7E641532
.long 0x7E661533
.long 0xD2A00031, 0x00026732
.long 0x7E681534
.long 0x7E6A1535
.long 0xD2A00032, 0x00026B34
.long 0x7E6C1536
.long 0x7E6E1537
.long 0xD2A00033, 0x00026F36
.long 0x8E468120
.long 0x800C460C
.long 0x820D800D
.long 0xE07C1000, 0x8003300D
	;; [unrolled: 45-line block ×4, first 2 shown]
.long 0xBF800000
.long 0x924602FF, 0x00000100
.long 0xD135000F, 0x00008D00
.long 0x241E1E82
.long 0xD9FE0000, 0x1800000F
.long 0xD9FE0010, 0x1C00000F
	;; [unrolled: 1-line block ×36, first 2 shown]
.long 0xBF800001
.long 0x0A505028
	;; [unrolled: 1-line block ×34, first 2 shown]
.long 0xD0CC0030, 0x0001003E
.long 0xD1000020, 0x00C240F2
.long 0xD1000021, 0x00C242F2
.long 0xD3B14028, 0x18025120
.long 0xD0CC0030, 0x0001003E
.long 0xD1000022, 0x00C244F2
.long 0xD1000023, 0x00C246F2
.long 0xD3B1402A, 0x18025522
.long 0xD0CC0030, 0x0001003E
.long 0xD1000024, 0x00C248F2
.long 0xD1000025, 0x00C24AF2
.long 0xD3B1402C, 0x18025924
.long 0xD0CC0030, 0x0001003E
.long 0xD1000026, 0x00C24CF2
.long 0xD1000027, 0x00C24EF2
.long 0xD3B1402E, 0x18025D26
.long 0xD3B24004, 0x18025118
.long 0xD3B24006, 0x1802551A
.long 0xD3B24008, 0x1802591C
.long 0xD3B2400A, 0x18025D1E
.long 0xBEC41E3A
.long 0x7E500304
.long 0x7E520305
.long 0x7E540306
.long 0x7E560307
.long 0x7E580308
.long 0x7E5A0309
.long 0x7E5C030A
.long 0x7E5E030B
.long 0x7E501528
.long 0x7E521529
.long 0xD2A00028, 0x00025328
.long 0x7E54152A
.long 0x7E56152B
.long 0xD2A00029, 0x0002572A
.long 0x7E58152C
.long 0x7E5A152D
.long 0xD2A0002A, 0x00025B2C
.long 0x7E5C152E
.long 0x7E5E152F
.long 0xD2A0002B, 0x00025F2E
.long 0x9246BA20
.long 0x800C460C
.long 0x820D800D
.long 0xE07C1000, 0x8003280D
.long 0xD0CC0030, 0x0001003E
.long 0xD1000020, 0x00C240F2
.long 0xD1000021, 0x00C242F2
.long 0xD3B14030, 0x18026120
.long 0xD0CC0030, 0x0001003E
.long 0xD1000022, 0x00C244F2
.long 0xD1000023, 0x00C246F2
.long 0xD3B14032, 0x18026522
.long 0xD0CC0030, 0x0001003E
.long 0xD1000024, 0x00C248F2
.long 0xD1000025, 0x00C24AF2
.long 0xD3B14034, 0x18026924
.long 0xD0CC0030, 0x0001003E
.long 0xD1000026, 0x00C24CF2
.long 0xD1000027, 0x00C24EF2
.long 0xD3B14036, 0x18026D26
.long 0xD3B24004, 0x18026118
.long 0xD3B24006, 0x1802651A
.long 0xD3B24008, 0x1802691C
.long 0xD3B2400A, 0x18026D1E
.long 0xBEC41E3A
.long 0x7E600304
.long 0x7E620305
.long 0x7E640306
.long 0x7E660307
.long 0x7E680308
.long 0x7E6A0309
.long 0x7E6C030A
.long 0x7E6E030B
.long 0x7E601530
.long 0x7E621531
.long 0xD2A00030, 0x00026330
.long 0x7E641532
.long 0x7E661533
.long 0xD2A00031, 0x00026732
.long 0x7E681534
.long 0x7E6A1535
.long 0xD2A00032, 0x00026B34
.long 0x7E6C1536
.long 0x7E6E1537
.long 0xD2A00033, 0x00026F36
.long 0x8E468120
.long 0x800C460C
.long 0x820D800D
.long 0xE07C1000, 0x8003300D
	;; [unrolled: 45-line block ×4, first 2 shown]
.long 0xBF800000
.long 0x924602FF, 0x00000100
.long 0xD135000F, 0x00008D00
.long 0x241E1E82
.long 0xD9FE0000, 0x1800000F
.long 0xD9FE0010, 0x1C00000F
	;; [unrolled: 1-line block ×36, first 2 shown]
.long 0xBF800001
.long 0x0A505028
	;; [unrolled: 1-line block ×34, first 2 shown]
.long 0xD0CC0030, 0x0001003E
.long 0xD1000020, 0x00C240F2
.long 0xD1000021, 0x00C242F2
.long 0xD3B14028, 0x18025120
.long 0xD0CC0030, 0x0001003E
.long 0xD1000022, 0x00C244F2
.long 0xD1000023, 0x00C246F2
.long 0xD3B1402A, 0x18025522
.long 0xD0CC0030, 0x0001003E
.long 0xD1000024, 0x00C248F2
.long 0xD1000025, 0x00C24AF2
.long 0xD3B1402C, 0x18025924
.long 0xD0CC0030, 0x0001003E
.long 0xD1000026, 0x00C24CF2
.long 0xD1000027, 0x00C24EF2
.long 0xD3B1402E, 0x18025D26
.long 0xD3B24004, 0x18025118
.long 0xD3B24006, 0x1802551A
.long 0xD3B24008, 0x1802591C
.long 0xD3B2400A, 0x18025D1E
.long 0xBEC41E3A
.long 0x7E500304
.long 0x7E520305
.long 0x7E540306
.long 0x7E560307
.long 0x7E580308
.long 0x7E5A0309
.long 0x7E5C030A
.long 0x7E5E030B
.long 0x7E501528
.long 0x7E521529
.long 0xD2A00028, 0x00025328
.long 0x7E54152A
.long 0x7E56152B
.long 0xD2A00029, 0x0002572A
.long 0x7E58152C
.long 0x7E5A152D
.long 0xD2A0002A, 0x00025B2C
.long 0x7E5C152E
.long 0x7E5E152F
.long 0xD2A0002B, 0x00025F2E
.long 0x9246BA20
.long 0x800C460C
.long 0x820D800D
.long 0xE07C1000, 0x8003280D
.long 0xD0CC0030, 0x0001003E
.long 0xD1000020, 0x00C240F2
.long 0xD1000021, 0x00C242F2
.long 0xD3B14030, 0x18026120
.long 0xD0CC0030, 0x0001003E
.long 0xD1000022, 0x00C244F2
.long 0xD1000023, 0x00C246F2
.long 0xD3B14032, 0x18026522
.long 0xD0CC0030, 0x0001003E
.long 0xD1000024, 0x00C248F2
.long 0xD1000025, 0x00C24AF2
.long 0xD3B14034, 0x18026924
.long 0xD0CC0030, 0x0001003E
.long 0xD1000026, 0x00C24CF2
.long 0xD1000027, 0x00C24EF2
.long 0xD3B14036, 0x18026D26
.long 0xD3B24004, 0x18026118
.long 0xD3B24006, 0x1802651A
.long 0xD3B24008, 0x1802691C
.long 0xD3B2400A, 0x18026D1E
.long 0xBEC41E3A
.long 0x7E600304
.long 0x7E620305
.long 0x7E640306
.long 0x7E660307
.long 0x7E680308
.long 0x7E6A0309
.long 0x7E6C030A
.long 0x7E6E030B
.long 0x7E601530
.long 0x7E621531
.long 0xD2A00030, 0x00026330
.long 0x7E641532
.long 0x7E661533
.long 0xD2A00031, 0x00026732
.long 0x7E681534
.long 0x7E6A1535
.long 0xD2A00032, 0x00026B34
.long 0x7E6C1536
.long 0x7E6E1537
.long 0xD2A00033, 0x00026F36
.long 0x8E468120
.long 0x800C460C
.long 0x820D800D
.long 0xE07C1000, 0x8003300D
	;; [unrolled: 45-line block ×4, first 2 shown]
.long 0xBF800000
.long 0x924602FF, 0x00000100
.long 0xD135000F, 0x00008D00
.long 0x241E1E82
.long 0xD9FE0000, 0x1800000F
.long 0xD9FE0010, 0x1C00000F
	;; [unrolled: 1-line block ×36, first 2 shown]
.long 0xBF800001
.long 0x0A505028
	;; [unrolled: 1-line block ×34, first 2 shown]
.long 0xD0CC0030, 0x0001003E
.long 0xD1000020, 0x00C240F2
.long 0xD1000021, 0x00C242F2
.long 0xD3B14028, 0x18025120
.long 0xD0CC0030, 0x0001003E
.long 0xD1000022, 0x00C244F2
.long 0xD1000023, 0x00C246F2
.long 0xD3B1402A, 0x18025522
.long 0xD0CC0030, 0x0001003E
.long 0xD1000024, 0x00C248F2
.long 0xD1000025, 0x00C24AF2
.long 0xD3B1402C, 0x18025924
.long 0xD0CC0030, 0x0001003E
.long 0xD1000026, 0x00C24CF2
.long 0xD1000027, 0x00C24EF2
.long 0xD3B1402E, 0x18025D26
.long 0xD3B24004, 0x18025118
.long 0xD3B24006, 0x1802551A
.long 0xD3B24008, 0x1802591C
.long 0xD3B2400A, 0x18025D1E
.long 0xBEC41E3A
.long 0x7E500304
.long 0x7E520305
.long 0x7E540306
.long 0x7E560307
.long 0x7E580308
.long 0x7E5A0309
.long 0x7E5C030A
.long 0x7E5E030B
.long 0x7E501528
.long 0x7E521529
.long 0xD2A00028, 0x00025328
.long 0x7E54152A
.long 0x7E56152B
.long 0xD2A00029, 0x0002572A
.long 0x7E58152C
.long 0x7E5A152D
.long 0xD2A0002A, 0x00025B2C
.long 0x7E5C152E
.long 0x7E5E152F
.long 0xD2A0002B, 0x00025F2E
.long 0x9246BA20
.long 0x800C460C
.long 0x820D800D
.long 0xE07C1000, 0x8003280D
.long 0xD0CC0030, 0x0001003E
.long 0xD1000020, 0x00C240F2
.long 0xD1000021, 0x00C242F2
.long 0xD3B14030, 0x18026120
.long 0xD0CC0030, 0x0001003E
.long 0xD1000022, 0x00C244F2
.long 0xD1000023, 0x00C246F2
.long 0xD3B14032, 0x18026522
.long 0xD0CC0030, 0x0001003E
.long 0xD1000024, 0x00C248F2
.long 0xD1000025, 0x00C24AF2
.long 0xD3B14034, 0x18026924
.long 0xD0CC0030, 0x0001003E
.long 0xD1000026, 0x00C24CF2
.long 0xD1000027, 0x00C24EF2
.long 0xD3B14036, 0x18026D26
.long 0xD3B24004, 0x18026118
.long 0xD3B24006, 0x1802651A
.long 0xD3B24008, 0x1802691C
.long 0xD3B2400A, 0x18026D1E
.long 0xBEC41E3A
.long 0x7E600304
.long 0x7E620305
.long 0x7E640306
.long 0x7E660307
.long 0x7E680308
.long 0x7E6A0309
.long 0x7E6C030A
.long 0x7E6E030B
.long 0x7E601530
.long 0x7E621531
.long 0xD2A00030, 0x00026330
.long 0x7E641532
.long 0x7E661533
.long 0xD2A00031, 0x00026732
.long 0x7E681534
.long 0x7E6A1535
.long 0xD2A00032, 0x00026B34
.long 0x7E6C1536
.long 0x7E6E1537
.long 0xD2A00033, 0x00026F36
.long 0x8E468120
.long 0x800C460C
.long 0x820D800D
.long 0xE07C1000, 0x8003300D
	;; [unrolled: 45-line block ×4, first 2 shown]
.long 0xBF800000
.long 0x924602FF, 0x00000100
.long 0xD135000F, 0x00008D00
.long 0x241E1E82
.long 0xD9FE0000, 0x1800000F
.long 0xD9FE0010, 0x1C00000F
	;; [unrolled: 1-line block ×4, first 2 shown]
.long 0x7E50038C
.long 0x7E520390
	;; [unrolled: 1-line block ×66, first 2 shown]
.long 0xD0CC0030, 0x0001003E
.long 0xD1000020, 0x00C240F2
.long 0xD1000021, 0x00C242F2
.long 0xD3B14028, 0x18025120
.long 0xD0CC0030, 0x0001003E
.long 0xD1000022, 0x00C244F2
.long 0xD1000023, 0x00C246F2
.long 0xD3B1402A, 0x18025522
.long 0xD0CC0030, 0x0001003E
.long 0xD1000024, 0x00C248F2
.long 0xD1000025, 0x00C24AF2
.long 0xD3B1402C, 0x18025924
.long 0xD0CC0030, 0x0001003E
.long 0xD1000026, 0x00C24CF2
.long 0xD1000027, 0x00C24EF2
.long 0xD3B1402E, 0x18025D26
.long 0xD3B24004, 0x18025118
.long 0xD3B24006, 0x1802551A
.long 0xD3B24008, 0x1802591C
.long 0xD3B2400A, 0x18025D1E
.long 0xBEC41E3A
.long 0x7E500304
.long 0x7E520305
.long 0x7E540306
.long 0x7E560307
.long 0x7E580308
.long 0x7E5A0309
.long 0x7E5C030A
.long 0x7E5E030B
.long 0x7E501528
.long 0x7E521529
.long 0xD2A00028, 0x00025328
.long 0x7E54152A
.long 0x7E56152B
.long 0xD2A00029, 0x0002572A
.long 0x7E58152C
.long 0x7E5A152D
.long 0xD2A0002A, 0x00025B2C
.long 0x7E5C152E
.long 0x7E5E152F
.long 0xD2A0002B, 0x00025F2E
.long 0x9246BA20
.long 0x800C460C
.long 0x820D800D
.long 0xE07C1000, 0x8003280D
.long 0xD0CC0030, 0x0001003E
.long 0xD1000020, 0x00C240F2
.long 0xD1000021, 0x00C242F2
.long 0xD3B14030, 0x18026120
.long 0xD0CC0030, 0x0001003E
.long 0xD1000022, 0x00C244F2
.long 0xD1000023, 0x00C246F2
.long 0xD3B14032, 0x18026522
.long 0xD0CC0030, 0x0001003E
.long 0xD1000024, 0x00C248F2
.long 0xD1000025, 0x00C24AF2
.long 0xD3B14034, 0x18026924
.long 0xD0CC0030, 0x0001003E
.long 0xD1000026, 0x00C24CF2
.long 0xD1000027, 0x00C24EF2
.long 0xD3B14036, 0x18026D26
.long 0xD3B24004, 0x18026118
.long 0xD3B24006, 0x1802651A
.long 0xD3B24008, 0x1802691C
.long 0xD3B2400A, 0x18026D1E
.long 0xBEC41E3A
.long 0x7E600304
.long 0x7E620305
.long 0x7E640306
.long 0x7E660307
.long 0x7E680308
.long 0x7E6A0309
.long 0x7E6C030A
.long 0x7E6E030B
.long 0x7E601530
.long 0x7E621531
.long 0xD2A00030, 0x00026330
.long 0x7E641532
.long 0x7E661533
.long 0xD2A00031, 0x00026732
.long 0x7E681534
.long 0x7E6A1535
.long 0xD2A00032, 0x00026B34
.long 0x7E6C1536
.long 0x7E6E1537
.long 0xD2A00033, 0x00026F36
.long 0x8E468120
.long 0x800C460C
.long 0x820D800D
.long 0xE07C1000, 0x8003300D
	;; [unrolled: 45-line block ×4, first 2 shown]
.long 0xBF800000
.long 0x924602FF, 0x00000100
.long 0xD135000F, 0x00008D00
.long 0x241E1E82
.long 0xD9FE0000, 0x1800000F
.long 0xD9FE0010, 0x1C00000F
	;; [unrolled: 1-line block ×4, first 2 shown]
.long 0x7E5003AC
.long 0x7E5203B0
	;; [unrolled: 1-line block ×66, first 2 shown]
.long 0xD0CC0030, 0x0001003E
.long 0xD1000020, 0x00C240F2
.long 0xD1000021, 0x00C242F2
.long 0xD3B14028, 0x18025120
.long 0xD0CC0030, 0x0001003E
.long 0xD1000022, 0x00C244F2
.long 0xD1000023, 0x00C246F2
.long 0xD3B1402A, 0x18025522
.long 0xD0CC0030, 0x0001003E
.long 0xD1000024, 0x00C248F2
.long 0xD1000025, 0x00C24AF2
.long 0xD3B1402C, 0x18025924
.long 0xD0CC0030, 0x0001003E
.long 0xD1000026, 0x00C24CF2
.long 0xD1000027, 0x00C24EF2
.long 0xD3B1402E, 0x18025D26
.long 0xD3B24004, 0x18025118
.long 0xD3B24006, 0x1802551A
.long 0xD3B24008, 0x1802591C
.long 0xD3B2400A, 0x18025D1E
.long 0xBEC41E3A
.long 0x7E500304
.long 0x7E520305
.long 0x7E540306
.long 0x7E560307
.long 0x7E580308
.long 0x7E5A0309
.long 0x7E5C030A
.long 0x7E5E030B
.long 0x7E501528
.long 0x7E521529
.long 0xD2A00028, 0x00025328
.long 0x7E54152A
.long 0x7E56152B
.long 0xD2A00029, 0x0002572A
.long 0x7E58152C
.long 0x7E5A152D
.long 0xD2A0002A, 0x00025B2C
.long 0x7E5C152E
.long 0x7E5E152F
.long 0xD2A0002B, 0x00025F2E
.long 0x9246BA20
.long 0x800C460C
.long 0x820D800D
.long 0xE07C1000, 0x8003280D
.long 0xD0CC0030, 0x0001003E
.long 0xD1000020, 0x00C240F2
.long 0xD1000021, 0x00C242F2
.long 0xD3B14030, 0x18026120
.long 0xD0CC0030, 0x0001003E
.long 0xD1000022, 0x00C244F2
.long 0xD1000023, 0x00C246F2
.long 0xD3B14032, 0x18026522
.long 0xD0CC0030, 0x0001003E
.long 0xD1000024, 0x00C248F2
.long 0xD1000025, 0x00C24AF2
.long 0xD3B14034, 0x18026924
.long 0xD0CC0030, 0x0001003E
.long 0xD1000026, 0x00C24CF2
.long 0xD1000027, 0x00C24EF2
.long 0xD3B14036, 0x18026D26
.long 0xD3B24004, 0x18026118
.long 0xD3B24006, 0x1802651A
.long 0xD3B24008, 0x1802691C
.long 0xD3B2400A, 0x18026D1E
.long 0xBEC41E3A
.long 0x7E600304
.long 0x7E620305
.long 0x7E640306
.long 0x7E660307
.long 0x7E680308
.long 0x7E6A0309
.long 0x7E6C030A
.long 0x7E6E030B
.long 0x7E601530
.long 0x7E621531
.long 0xD2A00030, 0x00026330
.long 0x7E641532
.long 0x7E661533
.long 0xD2A00031, 0x00026732
.long 0x7E681534
.long 0x7E6A1535
.long 0xD2A00032, 0x00026B34
.long 0x7E6C1536
.long 0x7E6E1537
.long 0xD2A00033, 0x00026F36
.long 0x8E468120
.long 0x800C460C
.long 0x820D800D
.long 0xE07C1000, 0x8003300D
	;; [unrolled: 45-line block ×4, first 2 shown]
.long 0xBF800000
.long 0x924602FF, 0x00000100
.long 0xD135000F, 0x00008D00
.long 0x241E1E82
.long 0xD9FE0000, 0x1800000F
.long 0xD9FE0010, 0x1C00000F
	;; [unrolled: 1-line block ×4, first 2 shown]
.long 0x7E5003CC
.long 0x7E5203D0
	;; [unrolled: 1-line block ×66, first 2 shown]
.long 0xD0CC0030, 0x0001003E
.long 0xD1000020, 0x00C240F2
.long 0xD1000021, 0x00C242F2
.long 0xD3B14028, 0x18025120
.long 0xD0CC0030, 0x0001003E
.long 0xD1000022, 0x00C244F2
.long 0xD1000023, 0x00C246F2
.long 0xD3B1402A, 0x18025522
.long 0xD0CC0030, 0x0001003E
.long 0xD1000024, 0x00C248F2
.long 0xD1000025, 0x00C24AF2
.long 0xD3B1402C, 0x18025924
.long 0xD0CC0030, 0x0001003E
.long 0xD1000026, 0x00C24CF2
.long 0xD1000027, 0x00C24EF2
.long 0xD3B1402E, 0x18025D26
.long 0xD3B24004, 0x18025118
.long 0xD3B24006, 0x1802551A
.long 0xD3B24008, 0x1802591C
.long 0xD3B2400A, 0x18025D1E
.long 0xBEC41E3A
.long 0x7E500304
.long 0x7E520305
.long 0x7E540306
.long 0x7E560307
.long 0x7E580308
.long 0x7E5A0309
.long 0x7E5C030A
.long 0x7E5E030B
.long 0x7E501528
.long 0x7E521529
.long 0xD2A00028, 0x00025328
.long 0x7E54152A
.long 0x7E56152B
.long 0xD2A00029, 0x0002572A
.long 0x7E58152C
.long 0x7E5A152D
.long 0xD2A0002A, 0x00025B2C
.long 0x7E5C152E
.long 0x7E5E152F
.long 0xD2A0002B, 0x00025F2E
.long 0x9246BA20
.long 0x800C460C
.long 0x820D800D
.long 0xE07C1000, 0x8003280D
.long 0xD0CC0030, 0x0001003E
.long 0xD1000020, 0x00C240F2
.long 0xD1000021, 0x00C242F2
.long 0xD3B14030, 0x18026120
.long 0xD0CC0030, 0x0001003E
.long 0xD1000022, 0x00C244F2
.long 0xD1000023, 0x00C246F2
.long 0xD3B14032, 0x18026522
.long 0xD0CC0030, 0x0001003E
.long 0xD1000024, 0x00C248F2
.long 0xD1000025, 0x00C24AF2
.long 0xD3B14034, 0x18026924
.long 0xD0CC0030, 0x0001003E
.long 0xD1000026, 0x00C24CF2
.long 0xD1000027, 0x00C24EF2
.long 0xD3B14036, 0x18026D26
.long 0xD3B24004, 0x18026118
.long 0xD3B24006, 0x1802651A
.long 0xD3B24008, 0x1802691C
.long 0xD3B2400A, 0x18026D1E
.long 0xBEC41E3A
.long 0x7E600304
.long 0x7E620305
.long 0x7E640306
.long 0x7E660307
.long 0x7E680308
.long 0x7E6A0309
.long 0x7E6C030A
.long 0x7E6E030B
.long 0x7E601530
.long 0x7E621531
.long 0xD2A00030, 0x00026330
.long 0x7E641532
.long 0x7E661533
.long 0xD2A00031, 0x00026732
.long 0x7E681534
.long 0x7E6A1535
.long 0xD2A00032, 0x00026B34
.long 0x7E6C1536
.long 0x7E6E1537
.long 0xD2A00033, 0x00026F36
.long 0x8E468120
.long 0x800C460C
.long 0x820D800D
.long 0xE07C1000, 0x8003300D
	;; [unrolled: 45-line block ×4, first 2 shown]
.long 0xBF800000
.long 0xBF824258
.long 0x7E8202FF, 0x80000000
.long 0xD0C90046, 0x00002900
	;; [unrolled: 1-line block ×3, first 2 shown]
.long 0x86CA4A46
.long 0x924602FF, 0x00000100
.long 0xD135000E, 0x00008D00
.long 0x241C1C82
.long 0xD100000E, 0x012A1D41
.long 0xBF8CC07F
.long 0xBF8A0000
.long 0xD9FE0000, 0x1000000E
.long 0xD9FE0010, 0x1400000E
.long 0x241E0082
.long 0xE05C1000, 0x800F180F
.long 0xE05C1010, 0x800F1C0F
.long 0xD1FE000D, 0x02060103
.long 0xD100000D, 0x012A1B41
.long 0xD1196A01, 0x00010301
.long 0xD1340002, 0x00004502
.long 0xD1340003, 0x00004103
.long 0xD0C90046, 0x00002900
.long 0xD0C9004A, 0x00002B01
.long 0x86CA4A46
.long 0x924602FF, 0x00000100
.long 0xD1350029, 0x00008D00
.long 0x24525282
.long 0xD1000029, 0x012A5341
.long 0x24540082
.long 0xD1FE0028, 0x02060103
.long 0xD1000028, 0x012A5141
.long 0xD1196A01, 0x00010301
.long 0xD1340002, 0x00004502
.long 0xD1340003, 0x00004103
.long 0xD0C90046, 0x00002900
.long 0xD0C9004A, 0x00002B01
.long 0x86CA4A46
.long 0x924602FF, 0x00000100
.long 0xD135002C, 0x00008D00
.long 0x24585882
.long 0xD100002C, 0x012A5941
.long 0x245A0082
.long 0xD1FE002B, 0x02060103
.long 0xD100002B, 0x012A5741
.long 0xD1196A01, 0x00010301
.long 0xD1340002, 0x00004502
.long 0xD1340003, 0x00004103
.long 0xD0C90046, 0x00002900
.long 0xD0C9004A, 0x00002B01
	;; [unrolled: 13-line block ×3, first 2 shown]
.long 0xD3D84025, 0x18000114
.long 0xD3D84026, 0x18000118
	;; [unrolled: 1-line block ×27, first 2 shown]
.long 0xBF800001
.long 0x0A404028
	;; [unrolled: 1-line block ×34, first 2 shown]
.long 0xD0CC0030, 0x0001003E
.long 0xD1000018, 0x00C230F2
.long 0xD1000019, 0x00C232F2
.long 0xD3B14020, 0x18024118
.long 0xD0CC0030, 0x0001003E
.long 0xD100001A, 0x00C234F2
.long 0xD100001B, 0x00C236F2
.long 0xD3B14022, 0x1802451A
.long 0xD0CC0030, 0x0001003E
.long 0xD100001C, 0x00C238F2
.long 0xD100001D, 0x00C23AF2
.long 0xD3B14024, 0x1802491C
.long 0xD0CC0030, 0x0001003E
.long 0xD100001E, 0x00C23CF2
.long 0xD100001F, 0x00C23EF2
.long 0xD3B14026, 0x18024D1E
.long 0xD3B24004, 0x18024110
.long 0xD3B24006, 0x18024512
.long 0xD3B24008, 0x18024914
.long 0xD3B2400A, 0x18024D16
.long 0xBEC41E3A
.long 0x7E400304
.long 0x7E420305
.long 0x7E440306
.long 0x7E460307
.long 0x7E480308
.long 0x7E4A0309
.long 0x7E4C030A
.long 0x7E4E030B
.long 0x7E401520
.long 0x7E421521
.long 0xD2A00020, 0x00024320
.long 0x7E441522
.long 0x7E461523
.long 0xD2A00021, 0x00024722
.long 0x7E481524
.long 0x7E4A1525
.long 0xD2A00022, 0x00024B24
.long 0x7E4C1526
.long 0x7E4E1527
.long 0xD2A00023, 0x00024F26
.long 0xE07C1000, 0x8003200D
.long 0xD0CC0030, 0x0001003E
.long 0xD1000018, 0x00C230F2
.long 0xD1000019, 0x00C232F2
.long 0xD3B14030, 0x18026118
.long 0xD0CC0030, 0x0001003E
.long 0xD100001A, 0x00C234F2
.long 0xD100001B, 0x00C236F2
.long 0xD3B14032, 0x1802651A
.long 0xD0CC0030, 0x0001003E
.long 0xD100001C, 0x00C238F2
.long 0xD100001D, 0x00C23AF2
.long 0xD3B14034, 0x1802691C
.long 0xD0CC0030, 0x0001003E
.long 0xD100001E, 0x00C23CF2
.long 0xD100001F, 0x00C23EF2
.long 0xD3B14036, 0x18026D1E
.long 0xD3B24004, 0x18026110
.long 0xD3B24006, 0x18026512
.long 0xD3B24008, 0x18026914
.long 0xD3B2400A, 0x18026D16
.long 0xBEC41E3A
.long 0x7E600304
.long 0x7E620305
.long 0x7E640306
.long 0x7E660307
.long 0x7E680308
.long 0x7E6A0309
.long 0x7E6C030A
.long 0x7E6E030B
.long 0x7E601530
.long 0x7E621531
.long 0xD2A00030, 0x00026330
.long 0x7E641532
.long 0x7E661533
.long 0xD2A00031, 0x00026732
.long 0x7E681534
.long 0x7E6A1535
.long 0xD2A00032, 0x00026B34
.long 0x7E6C1536
.long 0x7E6E1537
.long 0xD2A00033, 0x00026F36
.long 0xE07C1000, 0x80033028
.long 0xD0CC0030, 0x0001003E
.long 0xD1000018, 0x00C230F2
.long 0xD1000019, 0x00C232F2
.long 0xD3B14038, 0x18027118
.long 0xD0CC0030, 0x0001003E
.long 0xD100001A, 0x00C234F2
.long 0xD100001B, 0x00C236F2
.long 0xD3B1403A, 0x1802751A
.long 0xD0CC0030, 0x0001003E
.long 0xD100001C, 0x00C238F2
.long 0xD100001D, 0x00C23AF2
.long 0xD3B1403C, 0x1802791C
.long 0xD0CC0030, 0x0001003E
.long 0xD100001E, 0x00C23CF2
.long 0xD100001F, 0x00C23EF2
.long 0xD3B1403E, 0x18027D1E
.long 0xD3B24004, 0x18027110
.long 0xD3B24006, 0x18027512
.long 0xD3B24008, 0x18027914
.long 0xD3B2400A, 0x18027D16
.long 0xBEC41E3A
.long 0x7E700304
.long 0x7E720305
.long 0x7E740306
.long 0x7E760307
.long 0x7E780308
.long 0x7E7A0309
.long 0x7E7C030A
.long 0x7E7E030B
.long 0x7E701538
.long 0x7E721539
.long 0xD2A00038, 0x00027338
.long 0x7E74153A
.long 0x7E76153B
.long 0xD2A00039, 0x0002773A
.long 0x7E78153C
.long 0x7E7A153D
.long 0xD2A0003A, 0x00027B3C
.long 0x7E7C153E
.long 0x7E7E153F
.long 0xD2A0003B, 0x00027F3E
.long 0xE07C1000, 0x8003382B
.long 0xD0CC0030, 0x0001003E
.long 0xD1000018, 0x00C230F2
.long 0xD1000019, 0x00C232F2
.long 0xD3B14048, 0x18029118
.long 0xD0CC0030, 0x0001003E
.long 0xD100001A, 0x00C234F2
.long 0xD100001B, 0x00C236F2
.long 0xD3B1404A, 0x1802951A
.long 0xD0CC0030, 0x0001003E
.long 0xD100001C, 0x00C238F2
.long 0xD100001D, 0x00C23AF2
.long 0xD3B1404C, 0x1802991C
.long 0xD0CC0030, 0x0001003E
.long 0xD100001E, 0x00C23CF2
.long 0xD100001F, 0x00C23EF2
.long 0xD3B1404E, 0x18029D1E
.long 0xD3B24004, 0x18029110
.long 0xD3B24006, 0x18029512
.long 0xD3B24008, 0x18029914
.long 0xD3B2400A, 0x18029D16
.long 0xBEC41E3A
.long 0x7E900304
.long 0x7E920305
.long 0x7E940306
.long 0x7E960307
.long 0x7E980308
.long 0x7E9A0309
.long 0x7E9C030A
.long 0x7E9E030B
.long 0x7E901548
.long 0x7E921549
.long 0xD2A00048, 0x00029348
.long 0x7E94154A
.long 0x7E96154B
.long 0xD2A00049, 0x0002974A
.long 0x7E98154C
.long 0x7E9A154D
.long 0xD2A0004A, 0x00029B4C
.long 0x7E9C154E
.long 0x7E9E154F
.long 0xD2A0004B, 0x00029F4E
.long 0xE07C1000, 0x8003482E
.long 0xBF800000
.long 0x7E8202FF, 0x80000000
.long 0xD1196A01, 0x00013B01
.long 0x92469D22
.long 0xD1340002, 0x00008D02
.long 0x92469D20
.long 0xD1340003, 0x00008D03
.long 0xD0C90046, 0x00002900
	;; [unrolled: 1-line block ×3, first 2 shown]
.long 0x86CA4A46
.long 0x924602FF, 0x00000100
.long 0xD135000E, 0x00008D00
.long 0x241C1C82
.long 0xD100000E, 0x012A1D41
.long 0xD9FE0000, 0x1000000E
	;; [unrolled: 1-line block ×3, first 2 shown]
.long 0x241E0082
.long 0xE05C1000, 0x800F180F
.long 0xE05C1010, 0x800F1C0F
	;; [unrolled: 1-line block ×9, first 2 shown]
.long 0x86CA4A46
.long 0x924602FF, 0x00000100
.long 0xD1350029, 0x00008D00
.long 0x24525282
.long 0xD1000029, 0x012A5341
.long 0x24540082
.long 0xD1FE0028, 0x02060103
.long 0xD1000028, 0x012A5141
.long 0xD1196A01, 0x00010301
.long 0xD1340002, 0x00004502
.long 0xD1340003, 0x00004103
.long 0xD0C90046, 0x00002900
.long 0xD0C9004A, 0x00002B01
.long 0x86CA4A46
.long 0x924602FF, 0x00000100
.long 0xD135002C, 0x00008D00
.long 0x24585882
.long 0xD100002C, 0x012A5941
.long 0x245A0082
.long 0xD1FE002B, 0x02060103
.long 0xD100002B, 0x012A5741
.long 0xD1196A01, 0x00010301
.long 0xD1340002, 0x00004502
.long 0xD1340003, 0x00004103
.long 0xD0C90046, 0x00002900
.long 0xD0C9004A, 0x00002B01
	;; [unrolled: 13-line block ×3, first 2 shown]
.long 0xD3D84025, 0x18000134
.long 0xD3D84026, 0x18000138
	;; [unrolled: 1-line block ×27, first 2 shown]
.long 0xBF800001
.long 0x0A404028
	;; [unrolled: 1-line block ×34, first 2 shown]
.long 0xD0CC0030, 0x0001003E
.long 0xD1000018, 0x00C230F2
.long 0xD1000019, 0x00C232F2
.long 0xD3B14020, 0x18024118
.long 0xD0CC0030, 0x0001003E
.long 0xD100001A, 0x00C234F2
.long 0xD100001B, 0x00C236F2
.long 0xD3B14022, 0x1802451A
.long 0xD0CC0030, 0x0001003E
.long 0xD100001C, 0x00C238F2
.long 0xD100001D, 0x00C23AF2
.long 0xD3B14024, 0x1802491C
.long 0xD0CC0030, 0x0001003E
.long 0xD100001E, 0x00C23CF2
.long 0xD100001F, 0x00C23EF2
.long 0xD3B14026, 0x18024D1E
.long 0xD3B24004, 0x18024110
.long 0xD3B24006, 0x18024512
.long 0xD3B24008, 0x18024914
.long 0xD3B2400A, 0x18024D16
.long 0xBEC41E3A
.long 0x7E400304
.long 0x7E420305
.long 0x7E440306
.long 0x7E460307
.long 0x7E480308
.long 0x7E4A0309
.long 0x7E4C030A
.long 0x7E4E030B
.long 0x7E401520
.long 0x7E421521
.long 0xD2A00020, 0x00024320
.long 0x7E441522
.long 0x7E461523
.long 0xD2A00021, 0x00024722
.long 0x7E481524
.long 0x7E4A1525
.long 0xD2A00022, 0x00024B24
.long 0x7E4C1526
.long 0x7E4E1527
.long 0xD2A00023, 0x00024F26
.long 0xE07C1000, 0x8003200D
.long 0xD0CC0030, 0x0001003E
.long 0xD1000018, 0x00C230F2
.long 0xD1000019, 0x00C232F2
.long 0xD3B14030, 0x18026118
.long 0xD0CC0030, 0x0001003E
.long 0xD100001A, 0x00C234F2
.long 0xD100001B, 0x00C236F2
.long 0xD3B14032, 0x1802651A
.long 0xD0CC0030, 0x0001003E
.long 0xD100001C, 0x00C238F2
.long 0xD100001D, 0x00C23AF2
.long 0xD3B14034, 0x1802691C
.long 0xD0CC0030, 0x0001003E
.long 0xD100001E, 0x00C23CF2
.long 0xD100001F, 0x00C23EF2
.long 0xD3B14036, 0x18026D1E
.long 0xD3B24004, 0x18026110
.long 0xD3B24006, 0x18026512
.long 0xD3B24008, 0x18026914
.long 0xD3B2400A, 0x18026D16
.long 0xBEC41E3A
.long 0x7E600304
.long 0x7E620305
.long 0x7E640306
.long 0x7E660307
.long 0x7E680308
.long 0x7E6A0309
.long 0x7E6C030A
.long 0x7E6E030B
.long 0x7E601530
.long 0x7E621531
.long 0xD2A00030, 0x00026330
.long 0x7E641532
.long 0x7E661533
.long 0xD2A00031, 0x00026732
.long 0x7E681534
.long 0x7E6A1535
.long 0xD2A00032, 0x00026B34
.long 0x7E6C1536
.long 0x7E6E1537
.long 0xD2A00033, 0x00026F36
.long 0xE07C1000, 0x80033028
	;; [unrolled: 42-line block ×4, first 2 shown]
.long 0xBF800000
.long 0x7E8202FF, 0x80000000
.long 0xD1196A01, 0x00013B01
.long 0x92469D22
.long 0xD1340002, 0x00008D02
.long 0x92469D20
.long 0xD1340003, 0x00008D03
.long 0xD0C90046, 0x00002900
	;; [unrolled: 1-line block ×3, first 2 shown]
.long 0x86CA4A46
.long 0x924602FF, 0x00000100
.long 0xD135000E, 0x00008D00
.long 0x241C1C82
.long 0xD100000E, 0x012A1D41
.long 0xD9FE0000, 0x1000000E
	;; [unrolled: 1-line block ×3, first 2 shown]
.long 0x241E0082
.long 0xE05C1000, 0x800F180F
.long 0xE05C1010, 0x800F1C0F
	;; [unrolled: 1-line block ×9, first 2 shown]
.long 0x86CA4A46
.long 0x924602FF, 0x00000100
.long 0xD1350029, 0x00008D00
.long 0x24525282
.long 0xD1000029, 0x012A5341
.long 0x24540082
.long 0xD1FE0028, 0x02060103
.long 0xD1000028, 0x012A5141
.long 0xD1196A01, 0x00010301
.long 0xD1340002, 0x00004502
.long 0xD1340003, 0x00004103
.long 0xD0C90046, 0x00002900
.long 0xD0C9004A, 0x00002B01
.long 0x86CA4A46
.long 0x924602FF, 0x00000100
.long 0xD135002C, 0x00008D00
.long 0x24585882
.long 0xD100002C, 0x012A5941
.long 0x245A0082
.long 0xD1FE002B, 0x02060103
.long 0xD100002B, 0x012A5741
.long 0xD1196A01, 0x00010301
.long 0xD1340002, 0x00004502
.long 0xD1340003, 0x00004103
.long 0xD0C90046, 0x00002900
.long 0xD0C9004A, 0x00002B01
	;; [unrolled: 13-line block ×3, first 2 shown]
.long 0xD3D84025, 0x18000154
.long 0xD3D84026, 0x18000158
	;; [unrolled: 1-line block ×27, first 2 shown]
.long 0xBF800001
.long 0x0A404028
	;; [unrolled: 1-line block ×34, first 2 shown]
.long 0xD0CC0030, 0x0001003E
.long 0xD1000018, 0x00C230F2
.long 0xD1000019, 0x00C232F2
.long 0xD3B14020, 0x18024118
.long 0xD0CC0030, 0x0001003E
.long 0xD100001A, 0x00C234F2
.long 0xD100001B, 0x00C236F2
.long 0xD3B14022, 0x1802451A
.long 0xD0CC0030, 0x0001003E
.long 0xD100001C, 0x00C238F2
.long 0xD100001D, 0x00C23AF2
.long 0xD3B14024, 0x1802491C
.long 0xD0CC0030, 0x0001003E
.long 0xD100001E, 0x00C23CF2
.long 0xD100001F, 0x00C23EF2
.long 0xD3B14026, 0x18024D1E
.long 0xD3B24004, 0x18024110
.long 0xD3B24006, 0x18024512
.long 0xD3B24008, 0x18024914
.long 0xD3B2400A, 0x18024D16
.long 0xBEC41E3A
.long 0x7E400304
.long 0x7E420305
.long 0x7E440306
.long 0x7E460307
.long 0x7E480308
.long 0x7E4A0309
.long 0x7E4C030A
.long 0x7E4E030B
.long 0x7E401520
.long 0x7E421521
.long 0xD2A00020, 0x00024320
.long 0x7E441522
.long 0x7E461523
.long 0xD2A00021, 0x00024722
.long 0x7E481524
.long 0x7E4A1525
.long 0xD2A00022, 0x00024B24
.long 0x7E4C1526
.long 0x7E4E1527
.long 0xD2A00023, 0x00024F26
.long 0xE07C1000, 0x8003200D
.long 0xD0CC0030, 0x0001003E
.long 0xD1000018, 0x00C230F2
.long 0xD1000019, 0x00C232F2
.long 0xD3B14030, 0x18026118
.long 0xD0CC0030, 0x0001003E
.long 0xD100001A, 0x00C234F2
.long 0xD100001B, 0x00C236F2
.long 0xD3B14032, 0x1802651A
.long 0xD0CC0030, 0x0001003E
.long 0xD100001C, 0x00C238F2
.long 0xD100001D, 0x00C23AF2
.long 0xD3B14034, 0x1802691C
.long 0xD0CC0030, 0x0001003E
.long 0xD100001E, 0x00C23CF2
.long 0xD100001F, 0x00C23EF2
.long 0xD3B14036, 0x18026D1E
.long 0xD3B24004, 0x18026110
.long 0xD3B24006, 0x18026512
.long 0xD3B24008, 0x18026914
.long 0xD3B2400A, 0x18026D16
.long 0xBEC41E3A
.long 0x7E600304
.long 0x7E620305
.long 0x7E640306
.long 0x7E660307
.long 0x7E680308
.long 0x7E6A0309
.long 0x7E6C030A
.long 0x7E6E030B
.long 0x7E601530
.long 0x7E621531
.long 0xD2A00030, 0x00026330
.long 0x7E641532
.long 0x7E661533
.long 0xD2A00031, 0x00026732
.long 0x7E681534
.long 0x7E6A1535
.long 0xD2A00032, 0x00026B34
.long 0x7E6C1536
.long 0x7E6E1537
.long 0xD2A00033, 0x00026F36
.long 0xE07C1000, 0x80033028
	;; [unrolled: 42-line block ×4, first 2 shown]
.long 0xBF800000
.long 0x7E8202FF, 0x80000000
.long 0xD1196A01, 0x00013B01
.long 0x92469D22
.long 0xD1340002, 0x00008D02
.long 0x92469D20
.long 0xD1340003, 0x00008D03
.long 0xD0C90046, 0x00002900
	;; [unrolled: 1-line block ×3, first 2 shown]
.long 0x86CA4A46
.long 0x924602FF, 0x00000100
.long 0xD135000E, 0x00008D00
.long 0x241C1C82
.long 0xD100000E, 0x012A1D41
.long 0xD9FE0000, 0x1000000E
	;; [unrolled: 1-line block ×3, first 2 shown]
.long 0x241E0082
.long 0xE05C1000, 0x800F180F
.long 0xE05C1010, 0x800F1C0F
	;; [unrolled: 1-line block ×9, first 2 shown]
.long 0x86CA4A46
.long 0x924602FF, 0x00000100
.long 0xD1350029, 0x00008D00
.long 0x24525282
.long 0xD1000029, 0x012A5341
.long 0x24540082
.long 0xD1FE0028, 0x02060103
.long 0xD1000028, 0x012A5141
.long 0xD1196A01, 0x00010301
.long 0xD1340002, 0x00004502
.long 0xD1340003, 0x00004103
.long 0xD0C90046, 0x00002900
.long 0xD0C9004A, 0x00002B01
.long 0x86CA4A46
.long 0x924602FF, 0x00000100
.long 0xD135002C, 0x00008D00
.long 0x24585882
.long 0xD100002C, 0x012A5941
.long 0x245A0082
.long 0xD1FE002B, 0x02060103
.long 0xD100002B, 0x012A5741
.long 0xD1196A01, 0x00010301
.long 0xD1340002, 0x00004502
.long 0xD1340003, 0x00004103
.long 0xD0C90046, 0x00002900
.long 0xD0C9004A, 0x00002B01
.long 0x86CA4A46
.long 0x924602FF, 0x00000100
.long 0xD135002F, 0x00008D00
.long 0x245E5E82
.long 0xD100002F, 0x012A5F41
.long 0x24800082
.long 0xD1FE002E, 0x02060103
.long 0xD100002E, 0x012A5D41
.long 0xD3D84020, 0x18000160
.long 0xD3D84021, 0x18000164
.long 0xD3D84022, 0x18000168
.long 0xD3D84023, 0x1800016C
.long 0xD3D84024, 0x18000170
.long 0xD3D84025, 0x18000174
.long 0xD3D84026, 0x18000178
	;; [unrolled: 1-line block ×27, first 2 shown]
.long 0xBF800001
.long 0x0A404028
	;; [unrolled: 1-line block ×34, first 2 shown]
.long 0xD0CC0030, 0x0001003E
.long 0xD1000018, 0x00C230F2
.long 0xD1000019, 0x00C232F2
.long 0xD3B14020, 0x18024118
.long 0xD0CC0030, 0x0001003E
.long 0xD100001A, 0x00C234F2
.long 0xD100001B, 0x00C236F2
.long 0xD3B14022, 0x1802451A
.long 0xD0CC0030, 0x0001003E
.long 0xD100001C, 0x00C238F2
.long 0xD100001D, 0x00C23AF2
.long 0xD3B14024, 0x1802491C
.long 0xD0CC0030, 0x0001003E
.long 0xD100001E, 0x00C23CF2
.long 0xD100001F, 0x00C23EF2
.long 0xD3B14026, 0x18024D1E
.long 0xD3B24004, 0x18024110
.long 0xD3B24006, 0x18024512
.long 0xD3B24008, 0x18024914
.long 0xD3B2400A, 0x18024D16
.long 0xBEC41E3A
.long 0x7E400304
.long 0x7E420305
.long 0x7E440306
.long 0x7E460307
.long 0x7E480308
.long 0x7E4A0309
.long 0x7E4C030A
.long 0x7E4E030B
.long 0x7E401520
.long 0x7E421521
.long 0xD2A00020, 0x00024320
.long 0x7E441522
.long 0x7E461523
.long 0xD2A00021, 0x00024722
.long 0x7E481524
.long 0x7E4A1525
.long 0xD2A00022, 0x00024B24
.long 0x7E4C1526
.long 0x7E4E1527
.long 0xD2A00023, 0x00024F26
.long 0xE07C1000, 0x8003200D
.long 0xD0CC0030, 0x0001003E
.long 0xD1000018, 0x00C230F2
.long 0xD1000019, 0x00C232F2
.long 0xD3B14030, 0x18026118
.long 0xD0CC0030, 0x0001003E
.long 0xD100001A, 0x00C234F2
.long 0xD100001B, 0x00C236F2
.long 0xD3B14032, 0x1802651A
.long 0xD0CC0030, 0x0001003E
.long 0xD100001C, 0x00C238F2
.long 0xD100001D, 0x00C23AF2
.long 0xD3B14034, 0x1802691C
.long 0xD0CC0030, 0x0001003E
.long 0xD100001E, 0x00C23CF2
.long 0xD100001F, 0x00C23EF2
.long 0xD3B14036, 0x18026D1E
.long 0xD3B24004, 0x18026110
.long 0xD3B24006, 0x18026512
.long 0xD3B24008, 0x18026914
.long 0xD3B2400A, 0x18026D16
.long 0xBEC41E3A
.long 0x7E600304
.long 0x7E620305
.long 0x7E640306
.long 0x7E660307
.long 0x7E680308
.long 0x7E6A0309
.long 0x7E6C030A
.long 0x7E6E030B
.long 0x7E601530
.long 0x7E621531
.long 0xD2A00030, 0x00026330
.long 0x7E641532
.long 0x7E661533
.long 0xD2A00031, 0x00026732
.long 0x7E681534
.long 0x7E6A1535
.long 0xD2A00032, 0x00026B34
.long 0x7E6C1536
.long 0x7E6E1537
.long 0xD2A00033, 0x00026F36
.long 0xE07C1000, 0x80033028
	;; [unrolled: 42-line block ×4, first 2 shown]
.long 0xBF800000
.long 0x7E8202FF, 0x80000000
.long 0xD1196A01, 0x00013B01
.long 0x92469D22
.long 0xD1340002, 0x00008D02
.long 0x92469D20
.long 0xD1340003, 0x00008D03
.long 0xD0C90046, 0x00002900
	;; [unrolled: 1-line block ×3, first 2 shown]
.long 0x86CA4A46
.long 0x924602FF, 0x00000100
.long 0xD135000E, 0x00008D00
.long 0x241C1C82
.long 0xD100000E, 0x012A1D41
.long 0xD9FE0000, 0x1000000E
	;; [unrolled: 1-line block ×3, first 2 shown]
.long 0x241E0082
.long 0xE05C1000, 0x800F180F
.long 0xE05C1010, 0x800F1C0F
	;; [unrolled: 1-line block ×9, first 2 shown]
.long 0x86CA4A46
.long 0x924602FF, 0x00000100
.long 0xD1350029, 0x00008D00
.long 0x24525282
.long 0xD1000029, 0x012A5341
.long 0x24540082
.long 0xD1FE0028, 0x02060103
.long 0xD1000028, 0x012A5141
.long 0xD1196A01, 0x00010301
.long 0xD1340002, 0x00004502
.long 0xD1340003, 0x00004103
.long 0xD0C90046, 0x00002900
.long 0xD0C9004A, 0x00002B01
.long 0x86CA4A46
.long 0x924602FF, 0x00000100
.long 0xD135002C, 0x00008D00
.long 0x24585882
.long 0xD100002C, 0x012A5941
.long 0x245A0082
.long 0xD1FE002B, 0x02060103
.long 0xD100002B, 0x012A5741
.long 0xD1196A01, 0x00010301
.long 0xD1340002, 0x00004502
.long 0xD1340003, 0x00004103
.long 0xD0C90046, 0x00002900
.long 0xD0C9004A, 0x00002B01
	;; [unrolled: 13-line block ×3, first 2 shown]
.long 0xD3D84025, 0x18000194
.long 0xD3D84026, 0x18000198
	;; [unrolled: 1-line block ×27, first 2 shown]
.long 0xBF800001
.long 0x0A404028
	;; [unrolled: 1-line block ×34, first 2 shown]
.long 0xD0CC0030, 0x0001003E
.long 0xD1000018, 0x00C230F2
.long 0xD1000019, 0x00C232F2
.long 0xD3B14020, 0x18024118
.long 0xD0CC0030, 0x0001003E
.long 0xD100001A, 0x00C234F2
.long 0xD100001B, 0x00C236F2
.long 0xD3B14022, 0x1802451A
.long 0xD0CC0030, 0x0001003E
.long 0xD100001C, 0x00C238F2
.long 0xD100001D, 0x00C23AF2
.long 0xD3B14024, 0x1802491C
.long 0xD0CC0030, 0x0001003E
.long 0xD100001E, 0x00C23CF2
.long 0xD100001F, 0x00C23EF2
.long 0xD3B14026, 0x18024D1E
.long 0xD3B24004, 0x18024110
.long 0xD3B24006, 0x18024512
.long 0xD3B24008, 0x18024914
.long 0xD3B2400A, 0x18024D16
.long 0xBEC41E3A
.long 0x7E400304
.long 0x7E420305
.long 0x7E440306
.long 0x7E460307
.long 0x7E480308
.long 0x7E4A0309
.long 0x7E4C030A
.long 0x7E4E030B
.long 0x7E401520
.long 0x7E421521
.long 0xD2A00020, 0x00024320
.long 0x7E441522
.long 0x7E461523
.long 0xD2A00021, 0x00024722
.long 0x7E481524
.long 0x7E4A1525
.long 0xD2A00022, 0x00024B24
.long 0x7E4C1526
.long 0x7E4E1527
.long 0xD2A00023, 0x00024F26
.long 0xE07C1000, 0x8003200D
.long 0xD0CC0030, 0x0001003E
.long 0xD1000018, 0x00C230F2
.long 0xD1000019, 0x00C232F2
.long 0xD3B14030, 0x18026118
.long 0xD0CC0030, 0x0001003E
.long 0xD100001A, 0x00C234F2
.long 0xD100001B, 0x00C236F2
.long 0xD3B14032, 0x1802651A
.long 0xD0CC0030, 0x0001003E
.long 0xD100001C, 0x00C238F2
.long 0xD100001D, 0x00C23AF2
.long 0xD3B14034, 0x1802691C
.long 0xD0CC0030, 0x0001003E
.long 0xD100001E, 0x00C23CF2
.long 0xD100001F, 0x00C23EF2
.long 0xD3B14036, 0x18026D1E
.long 0xD3B24004, 0x18026110
.long 0xD3B24006, 0x18026512
.long 0xD3B24008, 0x18026914
.long 0xD3B2400A, 0x18026D16
.long 0xBEC41E3A
.long 0x7E600304
.long 0x7E620305
.long 0x7E640306
.long 0x7E660307
.long 0x7E680308
.long 0x7E6A0309
.long 0x7E6C030A
.long 0x7E6E030B
.long 0x7E601530
.long 0x7E621531
.long 0xD2A00030, 0x00026330
.long 0x7E641532
.long 0x7E661533
.long 0xD2A00031, 0x00026732
.long 0x7E681534
.long 0x7E6A1535
.long 0xD2A00032, 0x00026B34
.long 0x7E6C1536
.long 0x7E6E1537
.long 0xD2A00033, 0x00026F36
.long 0xE07C1000, 0x80033028
	;; [unrolled: 42-line block ×4, first 2 shown]
.long 0xBF800000
.long 0x7E8202FF, 0x80000000
.long 0xD1196A01, 0x00013B01
.long 0x92469D22
.long 0xD1340002, 0x00008D02
.long 0x92469D20
.long 0xD1340003, 0x00008D03
.long 0xD0C90046, 0x00002900
	;; [unrolled: 1-line block ×3, first 2 shown]
.long 0x86CA4A46
.long 0x924602FF, 0x00000100
.long 0xD135000E, 0x00008D00
.long 0x241C1C82
.long 0xD100000E, 0x012A1D41
.long 0xD9FE0000, 0x1000000E
	;; [unrolled: 1-line block ×3, first 2 shown]
.long 0x241E0082
.long 0xE05C1000, 0x800F180F
.long 0xE05C1010, 0x800F1C0F
	;; [unrolled: 1-line block ×9, first 2 shown]
.long 0x86CA4A46
.long 0x924602FF, 0x00000100
.long 0xD1350029, 0x00008D00
.long 0x24525282
.long 0xD1000029, 0x012A5341
.long 0x24540082
.long 0xD1FE0028, 0x02060103
.long 0xD1000028, 0x012A5141
.long 0xD1196A01, 0x00010301
.long 0xD1340002, 0x00004502
.long 0xD1340003, 0x00004103
.long 0xD0C90046, 0x00002900
.long 0xD0C9004A, 0x00002B01
.long 0x86CA4A46
.long 0x924602FF, 0x00000100
.long 0xD135002C, 0x00008D00
.long 0x24585882
.long 0xD100002C, 0x012A5941
.long 0x245A0082
.long 0xD1FE002B, 0x02060103
.long 0xD100002B, 0x012A5741
.long 0xD1196A01, 0x00010301
.long 0xD1340002, 0x00004502
.long 0xD1340003, 0x00004103
.long 0xD0C90046, 0x00002900
.long 0xD0C9004A, 0x00002B01
	;; [unrolled: 13-line block ×3, first 2 shown]
.long 0xD3D84025, 0x180001B4
.long 0xD3D84026, 0x180001B8
	;; [unrolled: 1-line block ×27, first 2 shown]
.long 0xBF800001
.long 0x0A404028
	;; [unrolled: 1-line block ×34, first 2 shown]
.long 0xD0CC0030, 0x0001003E
.long 0xD1000018, 0x00C230F2
.long 0xD1000019, 0x00C232F2
.long 0xD3B14020, 0x18024118
.long 0xD0CC0030, 0x0001003E
.long 0xD100001A, 0x00C234F2
.long 0xD100001B, 0x00C236F2
.long 0xD3B14022, 0x1802451A
.long 0xD0CC0030, 0x0001003E
.long 0xD100001C, 0x00C238F2
.long 0xD100001D, 0x00C23AF2
.long 0xD3B14024, 0x1802491C
.long 0xD0CC0030, 0x0001003E
.long 0xD100001E, 0x00C23CF2
.long 0xD100001F, 0x00C23EF2
.long 0xD3B14026, 0x18024D1E
.long 0xD3B24004, 0x18024110
.long 0xD3B24006, 0x18024512
.long 0xD3B24008, 0x18024914
.long 0xD3B2400A, 0x18024D16
.long 0xBEC41E3A
.long 0x7E400304
.long 0x7E420305
.long 0x7E440306
.long 0x7E460307
.long 0x7E480308
.long 0x7E4A0309
.long 0x7E4C030A
.long 0x7E4E030B
.long 0x7E401520
.long 0x7E421521
.long 0xD2A00020, 0x00024320
.long 0x7E441522
.long 0x7E461523
.long 0xD2A00021, 0x00024722
.long 0x7E481524
.long 0x7E4A1525
.long 0xD2A00022, 0x00024B24
.long 0x7E4C1526
.long 0x7E4E1527
.long 0xD2A00023, 0x00024F26
.long 0xE07C1000, 0x8003200D
.long 0xD0CC0030, 0x0001003E
.long 0xD1000018, 0x00C230F2
.long 0xD1000019, 0x00C232F2
.long 0xD3B14030, 0x18026118
.long 0xD0CC0030, 0x0001003E
.long 0xD100001A, 0x00C234F2
.long 0xD100001B, 0x00C236F2
.long 0xD3B14032, 0x1802651A
.long 0xD0CC0030, 0x0001003E
.long 0xD100001C, 0x00C238F2
.long 0xD100001D, 0x00C23AF2
.long 0xD3B14034, 0x1802691C
.long 0xD0CC0030, 0x0001003E
.long 0xD100001E, 0x00C23CF2
.long 0xD100001F, 0x00C23EF2
.long 0xD3B14036, 0x18026D1E
.long 0xD3B24004, 0x18026110
.long 0xD3B24006, 0x18026512
.long 0xD3B24008, 0x18026914
.long 0xD3B2400A, 0x18026D16
.long 0xBEC41E3A
.long 0x7E600304
.long 0x7E620305
.long 0x7E640306
.long 0x7E660307
.long 0x7E680308
.long 0x7E6A0309
.long 0x7E6C030A
.long 0x7E6E030B
.long 0x7E601530
.long 0x7E621531
.long 0xD2A00030, 0x00026330
.long 0x7E641532
.long 0x7E661533
.long 0xD2A00031, 0x00026732
.long 0x7E681534
.long 0x7E6A1535
.long 0xD2A00032, 0x00026B34
.long 0x7E6C1536
.long 0x7E6E1537
.long 0xD2A00033, 0x00026F36
.long 0xE07C1000, 0x80033028
	;; [unrolled: 42-line block ×4, first 2 shown]
.long 0xBF800000
.long 0x7E8202FF, 0x80000000
.long 0xD1196A01, 0x00013B01
.long 0x92469D22
.long 0xD1340002, 0x00008D02
.long 0x92469D20
.long 0xD1340003, 0x00008D03
.long 0xD0C90046, 0x00002900
	;; [unrolled: 1-line block ×3, first 2 shown]
.long 0x86CA4A46
.long 0x924602FF, 0x00000100
.long 0xD135000E, 0x00008D00
.long 0x241C1C82
.long 0xD100000E, 0x012A1D41
.long 0xD9FE0000, 0x1000000E
	;; [unrolled: 1-line block ×3, first 2 shown]
.long 0x241E0082
.long 0xE05C1000, 0x800F180F
.long 0xE05C1010, 0x800F1C0F
	;; [unrolled: 1-line block ×9, first 2 shown]
.long 0x86CA4A46
.long 0x924602FF, 0x00000100
.long 0xD1350029, 0x00008D00
.long 0x24525282
.long 0xD1000029, 0x012A5341
.long 0x24540082
.long 0xD1FE0028, 0x02060103
.long 0xD1000028, 0x012A5141
.long 0xD1196A01, 0x00010301
.long 0xD1340002, 0x00004502
.long 0xD1340003, 0x00004103
.long 0xD0C90046, 0x00002900
.long 0xD0C9004A, 0x00002B01
.long 0x86CA4A46
.long 0x924602FF, 0x00000100
.long 0xD135002C, 0x00008D00
.long 0x24585882
.long 0xD100002C, 0x012A5941
.long 0x245A0082
.long 0xD1FE002B, 0x02060103
.long 0xD100002B, 0x012A5741
.long 0xD1196A01, 0x00010301
.long 0xD1340002, 0x00004502
.long 0xD1340003, 0x00004103
.long 0xD0C90046, 0x00002900
.long 0xD0C9004A, 0x00002B01
.long 0x86CA4A46
.long 0x924602FF, 0x00000100
.long 0xD135002F, 0x00008D00
.long 0x245E5E82
.long 0xD100002F, 0x012A5F41
.long 0x24800082
.long 0xD1FE002E, 0x02060103
.long 0xD100002E, 0x012A5D41
.long 0xD3D84020, 0x180001C0
.long 0xD3D84021, 0x180001C4
.long 0xD3D84022, 0x180001C8
.long 0xD3D84023, 0x180001CC
.long 0xD3D84024, 0x180001D0
.long 0xD3D84025, 0x180001D4
.long 0xD3D84026, 0x180001D8
	;; [unrolled: 1-line block ×27, first 2 shown]
.long 0xBF800001
.long 0x0A404028
	;; [unrolled: 1-line block ×34, first 2 shown]
.long 0xD0CC0030, 0x0001003E
.long 0xD1000018, 0x00C230F2
.long 0xD1000019, 0x00C232F2
.long 0xD3B14020, 0x18024118
.long 0xD0CC0030, 0x0001003E
.long 0xD100001A, 0x00C234F2
.long 0xD100001B, 0x00C236F2
.long 0xD3B14022, 0x1802451A
.long 0xD0CC0030, 0x0001003E
.long 0xD100001C, 0x00C238F2
.long 0xD100001D, 0x00C23AF2
.long 0xD3B14024, 0x1802491C
.long 0xD0CC0030, 0x0001003E
.long 0xD100001E, 0x00C23CF2
.long 0xD100001F, 0x00C23EF2
.long 0xD3B14026, 0x18024D1E
.long 0xD3B24004, 0x18024110
.long 0xD3B24006, 0x18024512
.long 0xD3B24008, 0x18024914
.long 0xD3B2400A, 0x18024D16
.long 0xBEC41E3A
.long 0x7E400304
.long 0x7E420305
.long 0x7E440306
.long 0x7E460307
.long 0x7E480308
.long 0x7E4A0309
.long 0x7E4C030A
.long 0x7E4E030B
.long 0x7E401520
.long 0x7E421521
.long 0xD2A00020, 0x00024320
.long 0x7E441522
.long 0x7E461523
.long 0xD2A00021, 0x00024722
.long 0x7E481524
.long 0x7E4A1525
.long 0xD2A00022, 0x00024B24
.long 0x7E4C1526
.long 0x7E4E1527
.long 0xD2A00023, 0x00024F26
.long 0xE07C1000, 0x8003200D
.long 0xD0CC0030, 0x0001003E
.long 0xD1000018, 0x00C230F2
.long 0xD1000019, 0x00C232F2
.long 0xD3B14030, 0x18026118
.long 0xD0CC0030, 0x0001003E
.long 0xD100001A, 0x00C234F2
.long 0xD100001B, 0x00C236F2
.long 0xD3B14032, 0x1802651A
.long 0xD0CC0030, 0x0001003E
.long 0xD100001C, 0x00C238F2
.long 0xD100001D, 0x00C23AF2
.long 0xD3B14034, 0x1802691C
.long 0xD0CC0030, 0x0001003E
.long 0xD100001E, 0x00C23CF2
.long 0xD100001F, 0x00C23EF2
.long 0xD3B14036, 0x18026D1E
.long 0xD3B24004, 0x18026110
.long 0xD3B24006, 0x18026512
.long 0xD3B24008, 0x18026914
.long 0xD3B2400A, 0x18026D16
.long 0xBEC41E3A
.long 0x7E600304
.long 0x7E620305
.long 0x7E640306
.long 0x7E660307
.long 0x7E680308
.long 0x7E6A0309
.long 0x7E6C030A
.long 0x7E6E030B
.long 0x7E601530
.long 0x7E621531
.long 0xD2A00030, 0x00026330
.long 0x7E641532
.long 0x7E661533
.long 0xD2A00031, 0x00026732
.long 0x7E681534
.long 0x7E6A1535
.long 0xD2A00032, 0x00026B34
.long 0x7E6C1536
.long 0x7E6E1537
.long 0xD2A00033, 0x00026F36
.long 0xE07C1000, 0x80033028
	;; [unrolled: 42-line block ×4, first 2 shown]
.long 0xBF800000
.long 0x7E8202FF, 0x80000000
.long 0xD1196A01, 0x00013B01
.long 0x92469D22
.long 0xD1340002, 0x00008D02
.long 0x92469D20
.long 0xD1340003, 0x00008D03
.long 0xD0C90046, 0x00002900
	;; [unrolled: 1-line block ×3, first 2 shown]
.long 0x86CA4A46
.long 0x924602FF, 0x00000100
.long 0xD135000E, 0x00008D00
.long 0x241C1C82
.long 0xD100000E, 0x012A1D41
.long 0xD9FE0000, 0x1000000E
	;; [unrolled: 1-line block ×3, first 2 shown]
.long 0x241E0082
.long 0xE05C1000, 0x800F180F
.long 0xE05C1010, 0x800F1C0F
	;; [unrolled: 1-line block ×9, first 2 shown]
.long 0x86CA4A46
.long 0x924602FF, 0x00000100
.long 0xD1350029, 0x00008D00
.long 0x24525282
.long 0xD1000029, 0x012A5341
.long 0x24540082
.long 0xD1FE0028, 0x02060103
.long 0xD1000028, 0x012A5141
.long 0xD1196A01, 0x00010301
.long 0xD1340002, 0x00004502
.long 0xD1340003, 0x00004103
.long 0xD0C90046, 0x00002900
.long 0xD0C9004A, 0x00002B01
.long 0x86CA4A46
.long 0x924602FF, 0x00000100
.long 0xD135002C, 0x00008D00
.long 0x24585882
.long 0xD100002C, 0x012A5941
.long 0x245A0082
.long 0xD1FE002B, 0x02060103
.long 0xD100002B, 0x012A5741
.long 0xD1196A01, 0x00010301
.long 0xD1340002, 0x00004502
.long 0xD1340003, 0x00004103
.long 0xD0C90046, 0x00002900
.long 0xD0C9004A, 0x00002B01
	;; [unrolled: 13-line block ×3, first 2 shown]
.long 0xD3D84025, 0x180001F4
.long 0xD3D84026, 0x180001F8
	;; [unrolled: 1-line block ×27, first 2 shown]
.long 0xBF800001
.long 0x0A404028
	;; [unrolled: 1-line block ×34, first 2 shown]
.long 0xD0CC0030, 0x0001003E
.long 0xD1000018, 0x00C230F2
.long 0xD1000019, 0x00C232F2
.long 0xD3B14020, 0x18024118
.long 0xD0CC0030, 0x0001003E
.long 0xD100001A, 0x00C234F2
.long 0xD100001B, 0x00C236F2
.long 0xD3B14022, 0x1802451A
.long 0xD0CC0030, 0x0001003E
.long 0xD100001C, 0x00C238F2
.long 0xD100001D, 0x00C23AF2
.long 0xD3B14024, 0x1802491C
.long 0xD0CC0030, 0x0001003E
.long 0xD100001E, 0x00C23CF2
.long 0xD100001F, 0x00C23EF2
.long 0xD3B14026, 0x18024D1E
.long 0xD3B24004, 0x18024110
.long 0xD3B24006, 0x18024512
.long 0xD3B24008, 0x18024914
.long 0xD3B2400A, 0x18024D16
.long 0xBEC41E3A
.long 0x7E400304
.long 0x7E420305
.long 0x7E440306
.long 0x7E460307
.long 0x7E480308
.long 0x7E4A0309
.long 0x7E4C030A
.long 0x7E4E030B
.long 0x7E401520
.long 0x7E421521
.long 0xD2A00020, 0x00024320
.long 0x7E441522
.long 0x7E461523
.long 0xD2A00021, 0x00024722
.long 0x7E481524
.long 0x7E4A1525
.long 0xD2A00022, 0x00024B24
.long 0x7E4C1526
.long 0x7E4E1527
.long 0xD2A00023, 0x00024F26
.long 0xE07C1000, 0x8003200D
.long 0xD0CC0030, 0x0001003E
.long 0xD1000018, 0x00C230F2
.long 0xD1000019, 0x00C232F2
.long 0xD3B14030, 0x18026118
.long 0xD0CC0030, 0x0001003E
.long 0xD100001A, 0x00C234F2
.long 0xD100001B, 0x00C236F2
.long 0xD3B14032, 0x1802651A
.long 0xD0CC0030, 0x0001003E
.long 0xD100001C, 0x00C238F2
.long 0xD100001D, 0x00C23AF2
.long 0xD3B14034, 0x1802691C
.long 0xD0CC0030, 0x0001003E
.long 0xD100001E, 0x00C23CF2
.long 0xD100001F, 0x00C23EF2
.long 0xD3B14036, 0x18026D1E
.long 0xD3B24004, 0x18026110
.long 0xD3B24006, 0x18026512
.long 0xD3B24008, 0x18026914
.long 0xD3B2400A, 0x18026D16
.long 0xBEC41E3A
.long 0x7E600304
.long 0x7E620305
.long 0x7E640306
.long 0x7E660307
.long 0x7E680308
.long 0x7E6A0309
.long 0x7E6C030A
.long 0x7E6E030B
.long 0x7E601530
.long 0x7E621531
.long 0xD2A00030, 0x00026330
.long 0x7E641532
.long 0x7E661533
.long 0xD2A00031, 0x00026732
.long 0x7E681534
.long 0x7E6A1535
.long 0xD2A00032, 0x00026B34
.long 0x7E6C1536
.long 0x7E6E1537
.long 0xD2A00033, 0x00026F36
.long 0xE07C1000, 0x80033028
	;; [unrolled: 42-line block ×4, first 2 shown]
.long 0xBF800000
.long 0x7E8202FF, 0x80000000
.long 0xD1196A01, 0x00013B01
.long 0x92469D22
.long 0xD1340002, 0x00008D02
.long 0x92469D20
.long 0xD1340003, 0x00008D03
.long 0xD0C90046, 0x00002900
	;; [unrolled: 1-line block ×3, first 2 shown]
.long 0x86CA4A46
.long 0x924602FF, 0x00000100
.long 0xD135000E, 0x00008D00
.long 0x241C1C82
.long 0xD100000E, 0x012A1D41
.long 0xD9FE0000, 0x1000000E
	;; [unrolled: 1-line block ×3, first 2 shown]
.long 0x241E0082
.long 0xE05C1000, 0x800F180F
.long 0xE05C1010, 0x800F1C0F
	;; [unrolled: 1-line block ×9, first 2 shown]
.long 0x86CA4A46
.long 0x924602FF, 0x00000100
.long 0xD1350029, 0x00008D00
.long 0x24525282
.long 0xD1000029, 0x012A5341
.long 0x24540082
.long 0xD1FE0028, 0x02060103
.long 0xD1000028, 0x012A5141
	;; [unrolled: 1-line block ×7, first 2 shown]
.long 0x86CA4A46
.long 0x924602FF, 0x00000100
.long 0xD135002C, 0x00008D00
.long 0x24585882
.long 0xD100002C, 0x012A5941
.long 0x245A0082
.long 0xD1FE002B, 0x02060103
.long 0xD100002B, 0x012A5741
	;; [unrolled: 1-line block ×7, first 2 shown]
.long 0x86CA4A46
.long 0x924602FF, 0x00000100
.long 0xD135002F, 0x00008D00
.long 0x245E5E82
.long 0xD100002F, 0x012A5F41
.long 0x24800082
.long 0xD1FE002E, 0x02060103
.long 0xD100002E, 0x012A5D41
.long 0x7E40038C
.long 0x7E420390
	;; [unrolled: 1-line block ×66, first 2 shown]
.long 0xD0CC0030, 0x0001003E
.long 0xD1000018, 0x00C230F2
.long 0xD1000019, 0x00C232F2
.long 0xD3B14020, 0x18024118
.long 0xD0CC0030, 0x0001003E
.long 0xD100001A, 0x00C234F2
.long 0xD100001B, 0x00C236F2
.long 0xD3B14022, 0x1802451A
.long 0xD0CC0030, 0x0001003E
.long 0xD100001C, 0x00C238F2
.long 0xD100001D, 0x00C23AF2
.long 0xD3B14024, 0x1802491C
.long 0xD0CC0030, 0x0001003E
.long 0xD100001E, 0x00C23CF2
.long 0xD100001F, 0x00C23EF2
.long 0xD3B14026, 0x18024D1E
.long 0xD3B24004, 0x18024110
.long 0xD3B24006, 0x18024512
.long 0xD3B24008, 0x18024914
.long 0xD3B2400A, 0x18024D16
.long 0xBEC41E3A
.long 0x7E400304
.long 0x7E420305
.long 0x7E440306
.long 0x7E460307
.long 0x7E480308
.long 0x7E4A0309
.long 0x7E4C030A
.long 0x7E4E030B
.long 0x7E401520
.long 0x7E421521
.long 0xD2A00020, 0x00024320
.long 0x7E441522
.long 0x7E461523
.long 0xD2A00021, 0x00024722
.long 0x7E481524
.long 0x7E4A1525
.long 0xD2A00022, 0x00024B24
.long 0x7E4C1526
.long 0x7E4E1527
.long 0xD2A00023, 0x00024F26
.long 0xE07C1000, 0x8003200D
.long 0xD0CC0030, 0x0001003E
.long 0xD1000018, 0x00C230F2
.long 0xD1000019, 0x00C232F2
.long 0xD3B14030, 0x18026118
.long 0xD0CC0030, 0x0001003E
.long 0xD100001A, 0x00C234F2
.long 0xD100001B, 0x00C236F2
.long 0xD3B14032, 0x1802651A
.long 0xD0CC0030, 0x0001003E
.long 0xD100001C, 0x00C238F2
.long 0xD100001D, 0x00C23AF2
.long 0xD3B14034, 0x1802691C
.long 0xD0CC0030, 0x0001003E
.long 0xD100001E, 0x00C23CF2
.long 0xD100001F, 0x00C23EF2
.long 0xD3B14036, 0x18026D1E
.long 0xD3B24004, 0x18026110
.long 0xD3B24006, 0x18026512
.long 0xD3B24008, 0x18026914
.long 0xD3B2400A, 0x18026D16
.long 0xBEC41E3A
.long 0x7E600304
.long 0x7E620305
.long 0x7E640306
.long 0x7E660307
.long 0x7E680308
.long 0x7E6A0309
.long 0x7E6C030A
.long 0x7E6E030B
.long 0x7E601530
.long 0x7E621531
.long 0xD2A00030, 0x00026330
.long 0x7E641532
.long 0x7E661533
.long 0xD2A00031, 0x00026732
.long 0x7E681534
.long 0x7E6A1535
.long 0xD2A00032, 0x00026B34
.long 0x7E6C1536
.long 0x7E6E1537
.long 0xD2A00033, 0x00026F36
.long 0xE07C1000, 0x80033028
	;; [unrolled: 42-line block ×4, first 2 shown]
.long 0xBF800000
.long 0x7E8202FF, 0x80000000
.long 0xD1196A01, 0x00013B01
.long 0x92469D22
.long 0xD1340002, 0x00008D02
.long 0x92469D20
.long 0xD1340003, 0x00008D03
.long 0xD0C90046, 0x00002900
	;; [unrolled: 1-line block ×3, first 2 shown]
.long 0x86CA4A46
.long 0x924602FF, 0x00000100
.long 0xD135000E, 0x00008D00
.long 0x241C1C82
.long 0xD100000E, 0x012A1D41
.long 0xD9FE0000, 0x1000000E
	;; [unrolled: 1-line block ×3, first 2 shown]
.long 0x241E0082
.long 0xE05C1000, 0x800F180F
.long 0xE05C1010, 0x800F1C0F
	;; [unrolled: 1-line block ×9, first 2 shown]
.long 0x86CA4A46
.long 0x924602FF, 0x00000100
.long 0xD1350029, 0x00008D00
.long 0x24525282
.long 0xD1000029, 0x012A5341
.long 0x24540082
.long 0xD1FE0028, 0x02060103
.long 0xD1000028, 0x012A5141
	;; [unrolled: 1-line block ×7, first 2 shown]
.long 0x86CA4A46
.long 0x924602FF, 0x00000100
.long 0xD135002C, 0x00008D00
.long 0x24585882
.long 0xD100002C, 0x012A5941
.long 0x245A0082
.long 0xD1FE002B, 0x02060103
.long 0xD100002B, 0x012A5741
	;; [unrolled: 1-line block ×7, first 2 shown]
.long 0x86CA4A46
.long 0x924602FF, 0x00000100
.long 0xD135002F, 0x00008D00
.long 0x245E5E82
.long 0xD100002F, 0x012A5F41
.long 0x24800082
.long 0xD1FE002E, 0x02060103
.long 0xD100002E, 0x012A5D41
.long 0x7E4003AC
.long 0x7E4203B0
.long 0x7E4403B4
.long 0x7E4603B8
.long 0x7E4803BC
.long 0x7E4A03C0
.long 0x7E4C03C4
.long 0x7E4E03C8
.long 0x7E6003AD
.long 0x7E6203B1
.long 0x7E6403B5
.long 0x7E6603B9
.long 0x7E6803BD
.long 0x7E6A03C1
.long 0x7E6C03C5
.long 0x7E6E03C9
.long 0x7E7003AE
.long 0x7E7203B2
.long 0x7E7403B6
.long 0x7E7603BA
.long 0x7E7803BE
.long 0x7E7A03C2
.long 0x7E7C03C6
.long 0x7E7E03CA
.long 0x7E9003AF
.long 0x7E9203B3
.long 0x7E9403B7
.long 0x7E9603BB
.long 0x7E9803BF
.long 0x7E9A03C3
.long 0x7E9C03C7
.long 0x7E9E03CB
.long 0xBF800001
.long 0x0A404028
.long 0x0A424228
.long 0x0A444428
.long 0x0A464628
.long 0x0A484828
.long 0x0A4A4A28
.long 0x0A4C4C28
.long 0x0A4E4E28
.long 0x0A606028
.long 0x0A626228
.long 0x0A646428
.long 0x0A666628
.long 0x0A686828
.long 0x0A6A6A28
.long 0x0A6C6C28
.long 0x0A6E6E28
.long 0x0A707028
.long 0x0A727228
.long 0x0A747428
.long 0x0A767628
.long 0x0A787828
.long 0x0A7A7A28
.long 0x0A7C7C28
.long 0x0A7E7E28
.long 0x0A909028
.long 0x0A929228
.long 0x0A949428
.long 0x0A969628
.long 0x0A989828
.long 0x0A9A9A28
.long 0x0A9C9C28
.long 0x0A9E9E28
.long 0xBF8C0000
.long 0xD0CC0030, 0x0001003E
.long 0xD1000018, 0x00C230F2
.long 0xD1000019, 0x00C232F2
.long 0xD3B14020, 0x18024118
.long 0xD0CC0030, 0x0001003E
.long 0xD100001A, 0x00C234F2
.long 0xD100001B, 0x00C236F2
.long 0xD3B14022, 0x1802451A
.long 0xD0CC0030, 0x0001003E
.long 0xD100001C, 0x00C238F2
.long 0xD100001D, 0x00C23AF2
.long 0xD3B14024, 0x1802491C
.long 0xD0CC0030, 0x0001003E
.long 0xD100001E, 0x00C23CF2
.long 0xD100001F, 0x00C23EF2
.long 0xD3B14026, 0x18024D1E
.long 0xD3B24004, 0x18024110
.long 0xD3B24006, 0x18024512
.long 0xD3B24008, 0x18024914
.long 0xD3B2400A, 0x18024D16
.long 0xBEC41E3A
.long 0x7E400304
.long 0x7E420305
.long 0x7E440306
.long 0x7E460307
.long 0x7E480308
.long 0x7E4A0309
.long 0x7E4C030A
.long 0x7E4E030B
.long 0x7E401520
.long 0x7E421521
.long 0xD2A00020, 0x00024320
.long 0x7E441522
.long 0x7E461523
.long 0xD2A00021, 0x00024722
.long 0x7E481524
.long 0x7E4A1525
.long 0xD2A00022, 0x00024B24
.long 0x7E4C1526
.long 0x7E4E1527
.long 0xD2A00023, 0x00024F26
.long 0xE07C1000, 0x8003200D
.long 0xD0CC0030, 0x0001003E
.long 0xD1000018, 0x00C230F2
.long 0xD1000019, 0x00C232F2
.long 0xD3B14030, 0x18026118
.long 0xD0CC0030, 0x0001003E
.long 0xD100001A, 0x00C234F2
.long 0xD100001B, 0x00C236F2
.long 0xD3B14032, 0x1802651A
.long 0xD0CC0030, 0x0001003E
.long 0xD100001C, 0x00C238F2
.long 0xD100001D, 0x00C23AF2
.long 0xD3B14034, 0x1802691C
.long 0xD0CC0030, 0x0001003E
.long 0xD100001E, 0x00C23CF2
.long 0xD100001F, 0x00C23EF2
.long 0xD3B14036, 0x18026D1E
.long 0xD3B24004, 0x18026110
.long 0xD3B24006, 0x18026512
.long 0xD3B24008, 0x18026914
.long 0xD3B2400A, 0x18026D16
.long 0xBEC41E3A
.long 0x7E600304
.long 0x7E620305
.long 0x7E640306
.long 0x7E660307
.long 0x7E680308
.long 0x7E6A0309
.long 0x7E6C030A
.long 0x7E6E030B
.long 0x7E601530
.long 0x7E621531
.long 0xD2A00030, 0x00026330
.long 0x7E641532
.long 0x7E661533
.long 0xD2A00031, 0x00026732
.long 0x7E681534
.long 0x7E6A1535
.long 0xD2A00032, 0x00026B34
.long 0x7E6C1536
.long 0x7E6E1537
.long 0xD2A00033, 0x00026F36
.long 0xE07C1000, 0x80033028
	;; [unrolled: 42-line block ×4, first 2 shown]
.long 0xBF800000
.long 0x7E8202FF, 0x80000000
.long 0xD1196A01, 0x00013B01
.long 0x92469D22
.long 0xD1340002, 0x00008D02
.long 0x92469D20
.long 0xD1340003, 0x00008D03
.long 0xD0C90046, 0x00002900
	;; [unrolled: 1-line block ×3, first 2 shown]
.long 0x86CA4A46
.long 0x924602FF, 0x00000100
.long 0xD135000E, 0x00008D00
.long 0x241C1C82
.long 0xD100000E, 0x012A1D41
.long 0xD9FE0000, 0x1000000E
	;; [unrolled: 1-line block ×3, first 2 shown]
.long 0x241E0082
.long 0xE05C1000, 0x800F180F
.long 0xE05C1010, 0x800F1C0F
	;; [unrolled: 1-line block ×9, first 2 shown]
.long 0x86CA4A46
.long 0x924602FF, 0x00000100
.long 0xD1350029, 0x00008D00
.long 0x24525282
.long 0xD1000029, 0x012A5341
.long 0x24540082
.long 0xD1FE0028, 0x02060103
.long 0xD1000028, 0x012A5141
	;; [unrolled: 1-line block ×7, first 2 shown]
.long 0x86CA4A46
.long 0x924602FF, 0x00000100
.long 0xD135002C, 0x00008D00
.long 0x24585882
.long 0xD100002C, 0x012A5941
.long 0x245A0082
.long 0xD1FE002B, 0x02060103
.long 0xD100002B, 0x012A5741
	;; [unrolled: 1-line block ×7, first 2 shown]
.long 0x86CA4A46
.long 0x924602FF, 0x00000100
.long 0xD135002F, 0x00008D00
.long 0x245E5E82
.long 0xD100002F, 0x012A5F41
.long 0x24800082
.long 0xD1FE002E, 0x02060103
.long 0xD100002E, 0x012A5D41
.long 0x7E4003CC
.long 0x7E4203D0
	;; [unrolled: 1-line block ×66, first 2 shown]
.long 0xD0CC0030, 0x0001003E
.long 0xD1000018, 0x00C230F2
.long 0xD1000019, 0x00C232F2
.long 0xD3B14020, 0x18024118
.long 0xD0CC0030, 0x0001003E
.long 0xD100001A, 0x00C234F2
.long 0xD100001B, 0x00C236F2
.long 0xD3B14022, 0x1802451A
.long 0xD0CC0030, 0x0001003E
.long 0xD100001C, 0x00C238F2
.long 0xD100001D, 0x00C23AF2
.long 0xD3B14024, 0x1802491C
.long 0xD0CC0030, 0x0001003E
.long 0xD100001E, 0x00C23CF2
.long 0xD100001F, 0x00C23EF2
.long 0xD3B14026, 0x18024D1E
.long 0xD3B24004, 0x18024110
.long 0xD3B24006, 0x18024512
.long 0xD3B24008, 0x18024914
.long 0xD3B2400A, 0x18024D16
.long 0xBEC41E3A
.long 0x7E400304
.long 0x7E420305
.long 0x7E440306
.long 0x7E460307
.long 0x7E480308
.long 0x7E4A0309
.long 0x7E4C030A
.long 0x7E4E030B
.long 0x7E401520
.long 0x7E421521
.long 0xD2A00020, 0x00024320
.long 0x7E441522
.long 0x7E461523
.long 0xD2A00021, 0x00024722
.long 0x7E481524
.long 0x7E4A1525
.long 0xD2A00022, 0x00024B24
.long 0x7E4C1526
.long 0x7E4E1527
.long 0xD2A00023, 0x00024F26
.long 0xE07C1000, 0x8003200D
.long 0xD0CC0030, 0x0001003E
.long 0xD1000018, 0x00C230F2
.long 0xD1000019, 0x00C232F2
.long 0xD3B14030, 0x18026118
.long 0xD0CC0030, 0x0001003E
.long 0xD100001A, 0x00C234F2
.long 0xD100001B, 0x00C236F2
.long 0xD3B14032, 0x1802651A
.long 0xD0CC0030, 0x0001003E
.long 0xD100001C, 0x00C238F2
.long 0xD100001D, 0x00C23AF2
.long 0xD3B14034, 0x1802691C
.long 0xD0CC0030, 0x0001003E
.long 0xD100001E, 0x00C23CF2
.long 0xD100001F, 0x00C23EF2
.long 0xD3B14036, 0x18026D1E
.long 0xD3B24004, 0x18026110
.long 0xD3B24006, 0x18026512
.long 0xD3B24008, 0x18026914
.long 0xD3B2400A, 0x18026D16
.long 0xBEC41E3A
.long 0x7E600304
.long 0x7E620305
.long 0x7E640306
.long 0x7E660307
.long 0x7E680308
.long 0x7E6A0309
.long 0x7E6C030A
.long 0x7E6E030B
.long 0x7E601530
.long 0x7E621531
.long 0xD2A00030, 0x00026330
.long 0x7E641532
.long 0x7E661533
.long 0xD2A00031, 0x00026732
.long 0x7E681534
.long 0x7E6A1535
.long 0xD2A00032, 0x00026B34
.long 0x7E6C1536
.long 0x7E6E1537
.long 0xD2A00033, 0x00026F36
.long 0xE07C1000, 0x80033028
.long 0xD0CC0030, 0x0001003E
.long 0xD1000018, 0x00C230F2
.long 0xD1000019, 0x00C232F2
.long 0xD3B14038, 0x18027118
.long 0xD0CC0030, 0x0001003E
.long 0xD100001A, 0x00C234F2
.long 0xD100001B, 0x00C236F2
.long 0xD3B1403A, 0x1802751A
.long 0xD0CC0030, 0x0001003E
.long 0xD100001C, 0x00C238F2
.long 0xD100001D, 0x00C23AF2
.long 0xD3B1403C, 0x1802791C
.long 0xD0CC0030, 0x0001003E
.long 0xD100001E, 0x00C23CF2
.long 0xD100001F, 0x00C23EF2
.long 0xD3B1403E, 0x18027D1E
.long 0xD3B24004, 0x18027110
.long 0xD3B24006, 0x18027512
.long 0xD3B24008, 0x18027914
.long 0xD3B2400A, 0x18027D16
.long 0xBEC41E3A
.long 0x7E700304
.long 0x7E720305
.long 0x7E740306
.long 0x7E760307
.long 0x7E780308
.long 0x7E7A0309
.long 0x7E7C030A
.long 0x7E7E030B
.long 0x7E701538
.long 0x7E721539
.long 0xD2A00038, 0x00027338
.long 0x7E74153A
.long 0x7E76153B
.long 0xD2A00039, 0x0002773A
.long 0x7E78153C
.long 0x7E7A153D
.long 0xD2A0003A, 0x00027B3C
.long 0x7E7C153E
.long 0x7E7E153F
.long 0xD2A0003B, 0x00027F3E
.long 0xE07C1000, 0x8003382B
.long 0xD0CC0030, 0x0001003E
.long 0xD1000018, 0x00C230F2
.long 0xD1000019, 0x00C232F2
.long 0xD3B14048, 0x18029118
.long 0xD0CC0030, 0x0001003E
.long 0xD100001A, 0x00C234F2
.long 0xD100001B, 0x00C236F2
.long 0xD3B1404A, 0x1802951A
.long 0xD0CC0030, 0x0001003E
.long 0xD100001C, 0x00C238F2
.long 0xD100001D, 0x00C23AF2
.long 0xD3B1404C, 0x1802991C
.long 0xD0CC0030, 0x0001003E
.long 0xD100001E, 0x00C23CF2
.long 0xD100001F, 0x00C23EF2
.long 0xD3B1404E, 0x18029D1E
.long 0xD3B24004, 0x18029110
.long 0xD3B24006, 0x18029512
.long 0xD3B24008, 0x18029914
.long 0xD3B2400A, 0x18029D16
.long 0xBEC41E3A
.long 0x7E900304
.long 0x7E920305
.long 0x7E940306
.long 0x7E960307
.long 0x7E980308
.long 0x7E9A0309
.long 0x7E9C030A
.long 0x7E9E030B
.long 0x7E901548
.long 0x7E921549
.long 0xD2A00048, 0x00029348
.long 0x7E94154A
.long 0x7E96154B
.long 0xD2A00049, 0x0002974A
.long 0x7E98154C
.long 0x7E9A154D
.long 0xD2A0004A, 0x00029B4C
.long 0x7E9C154E
.long 0x7E9E154F
.long 0xD2A0004B, 0x00029F4E
.long 0xE07C1000, 0x8003482E
.long 0xBF800000
.long 0xBF822E80
.long 0x864614FF, 0x000000FF
.long 0x804709C1
.long 0xBF094702
.long 0x85468046
.long 0xB5460000
.long 0xBF851449
.long 0xBEC90080
.long 0x924815FF, 0x00000174
.long 0x8EC89048
.long 0x9247FF15, 0x00005D18
.long 0x80484847
.long 0x82498049
	;; [unrolled: 1-line block ×4, first 2 shown]
.long 0x9248FF47, 0x00000160
.long 0x80C64815
.long 0x80470AC1
	;; [unrolled: 1-line block ×6, first 2 shown]
.long 0xD1FE000E, 0x02060102
.long 0xE05C1000, 0x8004140E
	;; [unrolled: 1-line block ×4, first 2 shown]
.long 0x241E1E82
.long 0xBF8CC07F
	;; [unrolled: 1-line block ×3, first 2 shown]
.long 0xD9FE0000, 0x1800000F
.long 0xD9FE0010, 0x1C00000F
.long 0x24200082
.long 0xE05C1000, 0x800F2010
.long 0xE05C1010, 0x800F2410
.long 0x8E468122
.long 0x80104610
.long 0x82118011
.long 0xE05C1000, 0x8004300E
.long 0x8E468122
.long 0x80104610
.long 0x82118011
	;; [unrolled: 4-line block ×3, first 2 shown]
.long 0xE05C1000, 0x8004480E
.long 0xD1FE000D, 0x02060103
	;; [unrolled: 1-line block ×34, first 2 shown]
.long 0xBF800001
.long 0x0A505028
	;; [unrolled: 1-line block ×34, first 2 shown]
.long 0xD0CC0030, 0x0001003E
.long 0xD1000020, 0x00C240F2
	;; [unrolled: 1-line block ×28, first 2 shown]
.long 0xBEC41E3A
.long 0x7E500304
	;; [unrolled: 1-line block ×11, first 2 shown]
.long 0xD2A00028, 0x00025328
.long 0x7E54152A
.long 0x7E56152B
.long 0xD2A00029, 0x0002572A
.long 0x7E58152C
.long 0x7E5A152D
	;; [unrolled: 3-line block ×3, first 2 shown]
.long 0xD2A0002B, 0x00025F2E
.long 0xE07C1000, 0x8003280D
.long 0xBF8C0F73
.long 0xD0CC0030, 0x0001003E
.long 0xD1000020, 0x00C240F2
.long 0xD1000021, 0x00C242F2
.long 0xD3B14038, 0x18027120
.long 0xD0CC0030, 0x0001003E
.long 0xD1000022, 0x00C244F2
.long 0xD1000023, 0x00C246F2
.long 0xD3B1403A, 0x18027522
.long 0xD0CC0030, 0x0001003E
.long 0xD1000024, 0x00C248F2
.long 0xD1000025, 0x00C24AF2
.long 0xD3B1403C, 0x18027924
.long 0xD0CC0030, 0x0001003E
.long 0xD1000026, 0x00C24CF2
.long 0xD1000027, 0x00C24EF2
.long 0xD3B1403E, 0x18027D26
.long 0xD3A00038, 0x14E26029
.long 0xD3A01039, 0x14E66029
.long 0xD3A0003A, 0x14EA6229
.long 0xD3A0103B, 0x14EE6229
.long 0xD3A0003C, 0x14F26429
.long 0xD3A0103D, 0x14F66429
.long 0xD3A0003E, 0x14FA6629
.long 0xD3A0103F, 0x14FE6629
.long 0xD3B24004, 0x18027118
.long 0xD3B24006, 0x1802751A
.long 0xD3B24008, 0x1802791C
.long 0xD3B2400A, 0x18027D1E
.long 0xBEC41E3A
.long 0x7E700304
.long 0x7E720305
.long 0x7E740306
.long 0x7E760307
.long 0x7E780308
.long 0x7E7A0309
.long 0x7E7C030A
.long 0x7E7E030B
.long 0x7E701538
.long 0x7E721539
.long 0xD2A00038, 0x00027338
.long 0x7E74153A
.long 0x7E76153B
.long 0xD2A00039, 0x0002773A
.long 0x7E78153C
.long 0x7E7A153D
.long 0xD2A0003A, 0x00027B3C
.long 0x7E7C153E
.long 0x7E7E153F
.long 0xD2A0003B, 0x00027F3E
.long 0x8E468120
.long 0x800C460C
.long 0x820D800D
.long 0xE07C1000, 0x8003380D
.long 0xBF8C0F73
.long 0xD0CC0030, 0x0001003E
.long 0xD1000020, 0x00C240F2
.long 0xD1000021, 0x00C242F2
.long 0xD3B14040, 0x18028120
.long 0xD0CC0030, 0x0001003E
.long 0xD1000022, 0x00C244F2
.long 0xD1000023, 0x00C246F2
.long 0xD3B14042, 0x18028522
.long 0xD0CC0030, 0x0001003E
.long 0xD1000024, 0x00C248F2
.long 0xD1000025, 0x00C24AF2
.long 0xD3B14044, 0x18028924
.long 0xD0CC0030, 0x0001003E
.long 0xD1000026, 0x00C24CF2
.long 0xD1000027, 0x00C24EF2
.long 0xD3B14046, 0x18028D26
.long 0xD3A00040, 0x15026829
.long 0xD3A01041, 0x15066829
.long 0xD3A00042, 0x150A6A29
.long 0xD3A01043, 0x150E6A29
.long 0xD3A00044, 0x15126C29
.long 0xD3A01045, 0x15166C29
.long 0xD3A00046, 0x151A6E29
.long 0xD3A01047, 0x151E6E29
.long 0xD3B24004, 0x18028118
.long 0xD3B24006, 0x1802851A
.long 0xD3B24008, 0x1802891C
.long 0xD3B2400A, 0x18028D1E
.long 0xBEC41E3A
.long 0x7E800304
.long 0x7E820305
.long 0x7E840306
.long 0x7E860307
.long 0x7E880308
.long 0x7E8A0309
.long 0x7E8C030A
.long 0x7E8E030B
.long 0x7E801540
.long 0x7E821541
.long 0xD2A00040, 0x00028340
.long 0x7E841542
.long 0x7E861543
.long 0xD2A00041, 0x00028742
.long 0x7E881544
.long 0x7E8A1545
.long 0xD2A00042, 0x00028B44
.long 0x7E8C1546
.long 0x7E8E1547
.long 0xD2A00043, 0x00028F46
.long 0x8E468120
.long 0x800C460C
.long 0x820D800D
	;; [unrolled: 54-line block ×3, first 2 shown]
.long 0xE07C1000, 0x8003500D
.long 0xBF800000
.long 0x9246BA22
	;; [unrolled: 1-line block ×4, first 2 shown]
.long 0xE05C1000, 0x8004140E
.long 0x924602FF, 0x00000100
	;; [unrolled: 1-line block ×3, first 2 shown]
.long 0x241E1E82
.long 0xD9FE0000, 0x1800000F
.long 0xD9FE0010, 0x1C00000F
	;; [unrolled: 1-line block ×4, first 2 shown]
.long 0x8E468122
.long 0x80104610
.long 0x82118011
.long 0xE05C1000, 0x8004300E
.long 0x8E468122
.long 0x80104610
.long 0x82118011
.long 0xE05C1000, 0x8004340E
	;; [unrolled: 4-line block ×3, first 2 shown]
.long 0xD3D84028, 0x18000120
.long 0xD3D84029, 0x18000124
	;; [unrolled: 1-line block ×32, first 2 shown]
.long 0xBF800001
.long 0x0A505028
	;; [unrolled: 1-line block ×34, first 2 shown]
.long 0xD0CC0030, 0x0001003E
.long 0xD1000020, 0x00C240F2
.long 0xD1000021, 0x00C242F2
.long 0xD3B14028, 0x18025120
.long 0xD0CC0030, 0x0001003E
.long 0xD1000022, 0x00C244F2
.long 0xD1000023, 0x00C246F2
.long 0xD3B1402A, 0x18025522
.long 0xD0CC0030, 0x0001003E
.long 0xD1000024, 0x00C248F2
.long 0xD1000025, 0x00C24AF2
.long 0xD3B1402C, 0x18025924
.long 0xD0CC0030, 0x0001003E
.long 0xD1000026, 0x00C24CF2
.long 0xD1000027, 0x00C24EF2
.long 0xD3B1402E, 0x18025D26
.long 0xD3A00028, 0x14A22829
.long 0xD3A01029, 0x14A62829
.long 0xD3A0002A, 0x14AA2A29
.long 0xD3A0102B, 0x14AE2A29
.long 0xD3A0002C, 0x14B22C29
.long 0xD3A0102D, 0x14B62C29
.long 0xD3A0002E, 0x14BA2E29
.long 0xD3A0102F, 0x14BE2E29
.long 0xD3B24004, 0x18025118
.long 0xD3B24006, 0x1802551A
.long 0xD3B24008, 0x1802591C
.long 0xD3B2400A, 0x18025D1E
.long 0xBEC41E3A
.long 0x7E500304
.long 0x7E520305
.long 0x7E540306
.long 0x7E560307
.long 0x7E580308
.long 0x7E5A0309
.long 0x7E5C030A
.long 0x7E5E030B
.long 0x7E501528
.long 0x7E521529
.long 0xD2A00028, 0x00025328
.long 0x7E54152A
.long 0x7E56152B
.long 0xD2A00029, 0x0002572A
.long 0x7E58152C
.long 0x7E5A152D
.long 0xD2A0002A, 0x00025B2C
.long 0x7E5C152E
.long 0x7E5E152F
.long 0xD2A0002B, 0x00025F2E
.long 0x9246BA20
.long 0x800C460C
.long 0x820D800D
.long 0xE07C1000, 0x8003280D
.long 0xBF8C0F73
.long 0xD0CC0030, 0x0001003E
.long 0xD1000020, 0x00C240F2
.long 0xD1000021, 0x00C242F2
.long 0xD3B14038, 0x18027120
.long 0xD0CC0030, 0x0001003E
.long 0xD1000022, 0x00C244F2
.long 0xD1000023, 0x00C246F2
.long 0xD3B1403A, 0x18027522
.long 0xD0CC0030, 0x0001003E
.long 0xD1000024, 0x00C248F2
.long 0xD1000025, 0x00C24AF2
.long 0xD3B1403C, 0x18027924
.long 0xD0CC0030, 0x0001003E
.long 0xD1000026, 0x00C24CF2
.long 0xD1000027, 0x00C24EF2
.long 0xD3B1403E, 0x18027D26
.long 0xD3A00038, 0x14E26029
.long 0xD3A01039, 0x14E66029
.long 0xD3A0003A, 0x14EA6229
.long 0xD3A0103B, 0x14EE6229
.long 0xD3A0003C, 0x14F26429
.long 0xD3A0103D, 0x14F66429
.long 0xD3A0003E, 0x14FA6629
.long 0xD3A0103F, 0x14FE6629
.long 0xD3B24004, 0x18027118
.long 0xD3B24006, 0x1802751A
.long 0xD3B24008, 0x1802791C
.long 0xD3B2400A, 0x18027D1E
.long 0xBEC41E3A
.long 0x7E700304
.long 0x7E720305
.long 0x7E740306
.long 0x7E760307
.long 0x7E780308
.long 0x7E7A0309
.long 0x7E7C030A
.long 0x7E7E030B
.long 0x7E701538
.long 0x7E721539
.long 0xD2A00038, 0x00027338
.long 0x7E74153A
.long 0x7E76153B
.long 0xD2A00039, 0x0002773A
.long 0x7E78153C
.long 0x7E7A153D
.long 0xD2A0003A, 0x00027B3C
.long 0x7E7C153E
.long 0x7E7E153F
.long 0xD2A0003B, 0x00027F3E
.long 0x8E468120
.long 0x800C460C
.long 0x820D800D
.long 0xE07C1000, 0x8003380D
.long 0xBF8C0F73
	;; [unrolled: 54-line block ×4, first 2 shown]
.long 0x9246BA22
.long 0x80104610
	;; [unrolled: 1-line block ×3, first 2 shown]
.long 0xE05C1000, 0x8004140E
.long 0x924602FF, 0x00000100
	;; [unrolled: 1-line block ×3, first 2 shown]
.long 0x241E1E82
.long 0xD9FE0000, 0x1800000F
.long 0xD9FE0010, 0x1C00000F
	;; [unrolled: 1-line block ×4, first 2 shown]
.long 0x8E468122
.long 0x80104610
.long 0x82118011
.long 0xE05C1000, 0x8004300E
.long 0x8E468122
.long 0x80104610
.long 0x82118011
.long 0xE05C1000, 0x8004340E
.long 0x8E468122
.long 0x80104610
.long 0x82118011
.long 0xE05C1000, 0x8004480E
.long 0xD3D84028, 0x18000140
.long 0xD3D84029, 0x18000144
	;; [unrolled: 1-line block ×32, first 2 shown]
.long 0xBF800001
.long 0x0A505028
	;; [unrolled: 1-line block ×34, first 2 shown]
.long 0xD0CC0030, 0x0001003E
.long 0xD1000020, 0x00C240F2
.long 0xD1000021, 0x00C242F2
.long 0xD3B14028, 0x18025120
.long 0xD0CC0030, 0x0001003E
.long 0xD1000022, 0x00C244F2
.long 0xD1000023, 0x00C246F2
.long 0xD3B1402A, 0x18025522
.long 0xD0CC0030, 0x0001003E
.long 0xD1000024, 0x00C248F2
.long 0xD1000025, 0x00C24AF2
.long 0xD3B1402C, 0x18025924
.long 0xD0CC0030, 0x0001003E
.long 0xD1000026, 0x00C24CF2
.long 0xD1000027, 0x00C24EF2
.long 0xD3B1402E, 0x18025D26
.long 0xD3A00028, 0x14A22829
.long 0xD3A01029, 0x14A62829
.long 0xD3A0002A, 0x14AA2A29
.long 0xD3A0102B, 0x14AE2A29
.long 0xD3A0002C, 0x14B22C29
.long 0xD3A0102D, 0x14B62C29
.long 0xD3A0002E, 0x14BA2E29
.long 0xD3A0102F, 0x14BE2E29
.long 0xD3B24004, 0x18025118
.long 0xD3B24006, 0x1802551A
.long 0xD3B24008, 0x1802591C
.long 0xD3B2400A, 0x18025D1E
.long 0xBEC41E3A
.long 0x7E500304
.long 0x7E520305
.long 0x7E540306
.long 0x7E560307
.long 0x7E580308
.long 0x7E5A0309
.long 0x7E5C030A
.long 0x7E5E030B
.long 0x7E501528
.long 0x7E521529
.long 0xD2A00028, 0x00025328
.long 0x7E54152A
.long 0x7E56152B
.long 0xD2A00029, 0x0002572A
.long 0x7E58152C
.long 0x7E5A152D
.long 0xD2A0002A, 0x00025B2C
.long 0x7E5C152E
.long 0x7E5E152F
.long 0xD2A0002B, 0x00025F2E
.long 0x9246BA20
.long 0x800C460C
.long 0x820D800D
.long 0xE07C1000, 0x8003280D
.long 0xBF8C0F73
.long 0xD0CC0030, 0x0001003E
.long 0xD1000020, 0x00C240F2
.long 0xD1000021, 0x00C242F2
.long 0xD3B14038, 0x18027120
.long 0xD0CC0030, 0x0001003E
.long 0xD1000022, 0x00C244F2
.long 0xD1000023, 0x00C246F2
.long 0xD3B1403A, 0x18027522
.long 0xD0CC0030, 0x0001003E
.long 0xD1000024, 0x00C248F2
.long 0xD1000025, 0x00C24AF2
.long 0xD3B1403C, 0x18027924
.long 0xD0CC0030, 0x0001003E
.long 0xD1000026, 0x00C24CF2
.long 0xD1000027, 0x00C24EF2
.long 0xD3B1403E, 0x18027D26
.long 0xD3A00038, 0x14E26029
.long 0xD3A01039, 0x14E66029
.long 0xD3A0003A, 0x14EA6229
.long 0xD3A0103B, 0x14EE6229
.long 0xD3A0003C, 0x14F26429
.long 0xD3A0103D, 0x14F66429
.long 0xD3A0003E, 0x14FA6629
.long 0xD3A0103F, 0x14FE6629
.long 0xD3B24004, 0x18027118
.long 0xD3B24006, 0x1802751A
.long 0xD3B24008, 0x1802791C
.long 0xD3B2400A, 0x18027D1E
.long 0xBEC41E3A
.long 0x7E700304
.long 0x7E720305
.long 0x7E740306
.long 0x7E760307
.long 0x7E780308
.long 0x7E7A0309
.long 0x7E7C030A
.long 0x7E7E030B
.long 0x7E701538
.long 0x7E721539
.long 0xD2A00038, 0x00027338
.long 0x7E74153A
.long 0x7E76153B
.long 0xD2A00039, 0x0002773A
.long 0x7E78153C
.long 0x7E7A153D
.long 0xD2A0003A, 0x00027B3C
.long 0x7E7C153E
.long 0x7E7E153F
.long 0xD2A0003B, 0x00027F3E
.long 0x8E468120
.long 0x800C460C
.long 0x820D800D
.long 0xE07C1000, 0x8003380D
.long 0xBF8C0F73
	;; [unrolled: 54-line block ×4, first 2 shown]
.long 0x9246BA22
.long 0x80104610
	;; [unrolled: 1-line block ×3, first 2 shown]
.long 0xE05C1000, 0x8004140E
.long 0x924602FF, 0x00000100
	;; [unrolled: 1-line block ×3, first 2 shown]
.long 0x241E1E82
.long 0xD9FE0000, 0x1800000F
.long 0xD9FE0010, 0x1C00000F
	;; [unrolled: 1-line block ×4, first 2 shown]
.long 0x8E468122
.long 0x80104610
.long 0x82118011
.long 0xE05C1000, 0x8004300E
.long 0x8E468122
.long 0x80104610
.long 0x82118011
.long 0xE05C1000, 0x8004340E
	;; [unrolled: 4-line block ×3, first 2 shown]
.long 0xD3D84028, 0x18000160
.long 0xD3D84029, 0x18000164
	;; [unrolled: 1-line block ×32, first 2 shown]
.long 0xBF800001
.long 0x0A505028
	;; [unrolled: 1-line block ×34, first 2 shown]
.long 0xD0CC0030, 0x0001003E
.long 0xD1000020, 0x00C240F2
.long 0xD1000021, 0x00C242F2
.long 0xD3B14028, 0x18025120
.long 0xD0CC0030, 0x0001003E
.long 0xD1000022, 0x00C244F2
.long 0xD1000023, 0x00C246F2
.long 0xD3B1402A, 0x18025522
.long 0xD0CC0030, 0x0001003E
.long 0xD1000024, 0x00C248F2
.long 0xD1000025, 0x00C24AF2
.long 0xD3B1402C, 0x18025924
.long 0xD0CC0030, 0x0001003E
.long 0xD1000026, 0x00C24CF2
.long 0xD1000027, 0x00C24EF2
.long 0xD3B1402E, 0x18025D26
.long 0xD3A00028, 0x14A22829
.long 0xD3A01029, 0x14A62829
.long 0xD3A0002A, 0x14AA2A29
.long 0xD3A0102B, 0x14AE2A29
.long 0xD3A0002C, 0x14B22C29
.long 0xD3A0102D, 0x14B62C29
.long 0xD3A0002E, 0x14BA2E29
.long 0xD3A0102F, 0x14BE2E29
.long 0xD3B24004, 0x18025118
.long 0xD3B24006, 0x1802551A
.long 0xD3B24008, 0x1802591C
.long 0xD3B2400A, 0x18025D1E
.long 0xBEC41E3A
.long 0x7E500304
.long 0x7E520305
.long 0x7E540306
.long 0x7E560307
.long 0x7E580308
.long 0x7E5A0309
.long 0x7E5C030A
.long 0x7E5E030B
.long 0x7E501528
.long 0x7E521529
.long 0xD2A00028, 0x00025328
.long 0x7E54152A
.long 0x7E56152B
.long 0xD2A00029, 0x0002572A
.long 0x7E58152C
.long 0x7E5A152D
.long 0xD2A0002A, 0x00025B2C
.long 0x7E5C152E
.long 0x7E5E152F
.long 0xD2A0002B, 0x00025F2E
.long 0x9246BA20
.long 0x800C460C
.long 0x820D800D
.long 0xE07C1000, 0x8003280D
.long 0xBF8C0F73
.long 0xD0CC0030, 0x0001003E
.long 0xD1000020, 0x00C240F2
.long 0xD1000021, 0x00C242F2
.long 0xD3B14038, 0x18027120
.long 0xD0CC0030, 0x0001003E
.long 0xD1000022, 0x00C244F2
.long 0xD1000023, 0x00C246F2
.long 0xD3B1403A, 0x18027522
.long 0xD0CC0030, 0x0001003E
.long 0xD1000024, 0x00C248F2
.long 0xD1000025, 0x00C24AF2
.long 0xD3B1403C, 0x18027924
.long 0xD0CC0030, 0x0001003E
.long 0xD1000026, 0x00C24CF2
.long 0xD1000027, 0x00C24EF2
.long 0xD3B1403E, 0x18027D26
.long 0xD3A00038, 0x14E26029
.long 0xD3A01039, 0x14E66029
.long 0xD3A0003A, 0x14EA6229
.long 0xD3A0103B, 0x14EE6229
.long 0xD3A0003C, 0x14F26429
.long 0xD3A0103D, 0x14F66429
.long 0xD3A0003E, 0x14FA6629
.long 0xD3A0103F, 0x14FE6629
.long 0xD3B24004, 0x18027118
.long 0xD3B24006, 0x1802751A
.long 0xD3B24008, 0x1802791C
.long 0xD3B2400A, 0x18027D1E
.long 0xBEC41E3A
.long 0x7E700304
.long 0x7E720305
.long 0x7E740306
.long 0x7E760307
.long 0x7E780308
.long 0x7E7A0309
.long 0x7E7C030A
.long 0x7E7E030B
.long 0x7E701538
.long 0x7E721539
.long 0xD2A00038, 0x00027338
.long 0x7E74153A
.long 0x7E76153B
.long 0xD2A00039, 0x0002773A
.long 0x7E78153C
.long 0x7E7A153D
.long 0xD2A0003A, 0x00027B3C
.long 0x7E7C153E
.long 0x7E7E153F
.long 0xD2A0003B, 0x00027F3E
.long 0x8E468120
.long 0x800C460C
.long 0x820D800D
.long 0xE07C1000, 0x8003380D
.long 0xBF8C0F73
	;; [unrolled: 54-line block ×4, first 2 shown]
.long 0x9246BA22
.long 0x80104610
.long 0x82118011
.long 0xE05C1000, 0x8004140E
.long 0x924602FF, 0x00000100
	;; [unrolled: 1-line block ×3, first 2 shown]
.long 0x241E1E82
.long 0xD9FE0000, 0x1800000F
.long 0xD9FE0010, 0x1C00000F
	;; [unrolled: 1-line block ×4, first 2 shown]
.long 0x8E468122
.long 0x80104610
.long 0x82118011
.long 0xE05C1000, 0x8004300E
.long 0x8E468122
.long 0x80104610
.long 0x82118011
.long 0xE05C1000, 0x8004340E
	;; [unrolled: 4-line block ×3, first 2 shown]
.long 0xD3D84028, 0x18000180
.long 0xD3D84029, 0x18000184
	;; [unrolled: 1-line block ×32, first 2 shown]
.long 0xBF800001
.long 0x0A505028
	;; [unrolled: 1-line block ×34, first 2 shown]
.long 0xD0CC0030, 0x0001003E
.long 0xD1000020, 0x00C240F2
.long 0xD1000021, 0x00C242F2
.long 0xD3B14028, 0x18025120
.long 0xD0CC0030, 0x0001003E
.long 0xD1000022, 0x00C244F2
.long 0xD1000023, 0x00C246F2
.long 0xD3B1402A, 0x18025522
.long 0xD0CC0030, 0x0001003E
.long 0xD1000024, 0x00C248F2
.long 0xD1000025, 0x00C24AF2
.long 0xD3B1402C, 0x18025924
.long 0xD0CC0030, 0x0001003E
.long 0xD1000026, 0x00C24CF2
.long 0xD1000027, 0x00C24EF2
.long 0xD3B1402E, 0x18025D26
.long 0xD3A00028, 0x14A22829
.long 0xD3A01029, 0x14A62829
.long 0xD3A0002A, 0x14AA2A29
.long 0xD3A0102B, 0x14AE2A29
.long 0xD3A0002C, 0x14B22C29
.long 0xD3A0102D, 0x14B62C29
.long 0xD3A0002E, 0x14BA2E29
.long 0xD3A0102F, 0x14BE2E29
.long 0xD3B24004, 0x18025118
.long 0xD3B24006, 0x1802551A
.long 0xD3B24008, 0x1802591C
.long 0xD3B2400A, 0x18025D1E
.long 0xBEC41E3A
.long 0x7E500304
.long 0x7E520305
.long 0x7E540306
.long 0x7E560307
.long 0x7E580308
.long 0x7E5A0309
.long 0x7E5C030A
.long 0x7E5E030B
.long 0x7E501528
.long 0x7E521529
.long 0xD2A00028, 0x00025328
.long 0x7E54152A
.long 0x7E56152B
.long 0xD2A00029, 0x0002572A
.long 0x7E58152C
.long 0x7E5A152D
.long 0xD2A0002A, 0x00025B2C
.long 0x7E5C152E
.long 0x7E5E152F
.long 0xD2A0002B, 0x00025F2E
.long 0x9246BA20
.long 0x800C460C
.long 0x820D800D
.long 0xE07C1000, 0x8003280D
.long 0xBF8C0F73
.long 0xD0CC0030, 0x0001003E
.long 0xD1000020, 0x00C240F2
.long 0xD1000021, 0x00C242F2
.long 0xD3B14038, 0x18027120
.long 0xD0CC0030, 0x0001003E
.long 0xD1000022, 0x00C244F2
.long 0xD1000023, 0x00C246F2
.long 0xD3B1403A, 0x18027522
.long 0xD0CC0030, 0x0001003E
.long 0xD1000024, 0x00C248F2
.long 0xD1000025, 0x00C24AF2
.long 0xD3B1403C, 0x18027924
.long 0xD0CC0030, 0x0001003E
.long 0xD1000026, 0x00C24CF2
.long 0xD1000027, 0x00C24EF2
.long 0xD3B1403E, 0x18027D26
.long 0xD3A00038, 0x14E26029
.long 0xD3A01039, 0x14E66029
.long 0xD3A0003A, 0x14EA6229
.long 0xD3A0103B, 0x14EE6229
.long 0xD3A0003C, 0x14F26429
.long 0xD3A0103D, 0x14F66429
.long 0xD3A0003E, 0x14FA6629
.long 0xD3A0103F, 0x14FE6629
.long 0xD3B24004, 0x18027118
.long 0xD3B24006, 0x1802751A
.long 0xD3B24008, 0x1802791C
.long 0xD3B2400A, 0x18027D1E
.long 0xBEC41E3A
.long 0x7E700304
.long 0x7E720305
.long 0x7E740306
.long 0x7E760307
.long 0x7E780308
.long 0x7E7A0309
.long 0x7E7C030A
.long 0x7E7E030B
.long 0x7E701538
.long 0x7E721539
.long 0xD2A00038, 0x00027338
.long 0x7E74153A
.long 0x7E76153B
.long 0xD2A00039, 0x0002773A
.long 0x7E78153C
.long 0x7E7A153D
.long 0xD2A0003A, 0x00027B3C
.long 0x7E7C153E
.long 0x7E7E153F
.long 0xD2A0003B, 0x00027F3E
.long 0x8E468120
.long 0x800C460C
.long 0x820D800D
.long 0xE07C1000, 0x8003380D
.long 0xBF8C0F73
	;; [unrolled: 54-line block ×4, first 2 shown]
.long 0x9246BA22
.long 0x80104610
	;; [unrolled: 1-line block ×3, first 2 shown]
.long 0xE05C1000, 0x8004140E
.long 0x924602FF, 0x00000100
	;; [unrolled: 1-line block ×3, first 2 shown]
.long 0x241E1E82
.long 0xD9FE0000, 0x1800000F
.long 0xD9FE0010, 0x1C00000F
	;; [unrolled: 1-line block ×4, first 2 shown]
.long 0x8E468122
.long 0x80104610
.long 0x82118011
.long 0xE05C1000, 0x8004300E
.long 0x8E468122
.long 0x80104610
.long 0x82118011
.long 0xE05C1000, 0x8004340E
	;; [unrolled: 4-line block ×3, first 2 shown]
.long 0xD3D84028, 0x180001A0
.long 0xD3D84029, 0x180001A4
	;; [unrolled: 1-line block ×32, first 2 shown]
.long 0xBF800001
.long 0x0A505028
.long 0x0A525228
.long 0x0A545428
.long 0x0A565628
.long 0x0A585828
.long 0x0A5A5A28
.long 0x0A5C5C28
.long 0x0A5E5E28
.long 0x0A707028
.long 0x0A727228
.long 0x0A747428
.long 0x0A767628
.long 0x0A787828
.long 0x0A7A7A28
.long 0x0A7C7C28
.long 0x0A7E7E28
.long 0x0A808028
.long 0x0A828228
.long 0x0A848428
.long 0x0A868628
.long 0x0A888828
.long 0x0A8A8A28
.long 0x0A8C8C28
.long 0x0A8E8E28
.long 0x0AA0A028
.long 0x0AA2A228
.long 0x0AA4A428
.long 0x0AA6A628
.long 0x0AA8A828
.long 0x0AAAAA28
.long 0x0AACAC28
.long 0x0AAEAE28
.long 0xBF8C0073
.long 0xD0CC0030, 0x0001003E
.long 0xD1000020, 0x00C240F2
.long 0xD1000021, 0x00C242F2
.long 0xD3B14028, 0x18025120
.long 0xD0CC0030, 0x0001003E
.long 0xD1000022, 0x00C244F2
.long 0xD1000023, 0x00C246F2
.long 0xD3B1402A, 0x18025522
.long 0xD0CC0030, 0x0001003E
.long 0xD1000024, 0x00C248F2
.long 0xD1000025, 0x00C24AF2
.long 0xD3B1402C, 0x18025924
.long 0xD0CC0030, 0x0001003E
.long 0xD1000026, 0x00C24CF2
.long 0xD1000027, 0x00C24EF2
.long 0xD3B1402E, 0x18025D26
.long 0xD3A00028, 0x14A22829
.long 0xD3A01029, 0x14A62829
.long 0xD3A0002A, 0x14AA2A29
.long 0xD3A0102B, 0x14AE2A29
.long 0xD3A0002C, 0x14B22C29
.long 0xD3A0102D, 0x14B62C29
.long 0xD3A0002E, 0x14BA2E29
.long 0xD3A0102F, 0x14BE2E29
.long 0xD3B24004, 0x18025118
.long 0xD3B24006, 0x1802551A
.long 0xD3B24008, 0x1802591C
.long 0xD3B2400A, 0x18025D1E
.long 0xBEC41E3A
.long 0x7E500304
.long 0x7E520305
.long 0x7E540306
.long 0x7E560307
.long 0x7E580308
.long 0x7E5A0309
.long 0x7E5C030A
.long 0x7E5E030B
.long 0x7E501528
.long 0x7E521529
.long 0xD2A00028, 0x00025328
.long 0x7E54152A
.long 0x7E56152B
.long 0xD2A00029, 0x0002572A
.long 0x7E58152C
.long 0x7E5A152D
.long 0xD2A0002A, 0x00025B2C
.long 0x7E5C152E
.long 0x7E5E152F
.long 0xD2A0002B, 0x00025F2E
.long 0x9246BA20
.long 0x800C460C
.long 0x820D800D
.long 0xE07C1000, 0x8003280D
.long 0xBF8C0F73
.long 0xD0CC0030, 0x0001003E
.long 0xD1000020, 0x00C240F2
.long 0xD1000021, 0x00C242F2
.long 0xD3B14038, 0x18027120
.long 0xD0CC0030, 0x0001003E
.long 0xD1000022, 0x00C244F2
.long 0xD1000023, 0x00C246F2
.long 0xD3B1403A, 0x18027522
.long 0xD0CC0030, 0x0001003E
.long 0xD1000024, 0x00C248F2
.long 0xD1000025, 0x00C24AF2
.long 0xD3B1403C, 0x18027924
.long 0xD0CC0030, 0x0001003E
.long 0xD1000026, 0x00C24CF2
.long 0xD1000027, 0x00C24EF2
.long 0xD3B1403E, 0x18027D26
.long 0xD3A00038, 0x14E26029
.long 0xD3A01039, 0x14E66029
.long 0xD3A0003A, 0x14EA6229
.long 0xD3A0103B, 0x14EE6229
.long 0xD3A0003C, 0x14F26429
.long 0xD3A0103D, 0x14F66429
.long 0xD3A0003E, 0x14FA6629
.long 0xD3A0103F, 0x14FE6629
.long 0xD3B24004, 0x18027118
.long 0xD3B24006, 0x1802751A
.long 0xD3B24008, 0x1802791C
.long 0xD3B2400A, 0x18027D1E
.long 0xBEC41E3A
.long 0x7E700304
.long 0x7E720305
.long 0x7E740306
.long 0x7E760307
.long 0x7E780308
.long 0x7E7A0309
.long 0x7E7C030A
.long 0x7E7E030B
.long 0x7E701538
.long 0x7E721539
.long 0xD2A00038, 0x00027338
.long 0x7E74153A
.long 0x7E76153B
.long 0xD2A00039, 0x0002773A
.long 0x7E78153C
.long 0x7E7A153D
.long 0xD2A0003A, 0x00027B3C
.long 0x7E7C153E
.long 0x7E7E153F
.long 0xD2A0003B, 0x00027F3E
.long 0x8E468120
.long 0x800C460C
.long 0x820D800D
.long 0xE07C1000, 0x8003380D
.long 0xBF8C0F73
	;; [unrolled: 54-line block ×4, first 2 shown]
.long 0x9246BA22
.long 0x80104610
	;; [unrolled: 1-line block ×3, first 2 shown]
.long 0xE05C1000, 0x8004140E
.long 0x924602FF, 0x00000100
.long 0xD135000F, 0x00008D00
.long 0x241E1E82
.long 0xD9FE0000, 0x1800000F
.long 0xD9FE0010, 0x1C00000F
	;; [unrolled: 1-line block ×4, first 2 shown]
.long 0x8E468122
.long 0x80104610
.long 0x82118011
.long 0xE05C1000, 0x8004300E
.long 0x8E468122
.long 0x80104610
.long 0x82118011
.long 0xE05C1000, 0x8004340E
	;; [unrolled: 4-line block ×3, first 2 shown]
.long 0xD3D84028, 0x180001C0
.long 0xD3D84029, 0x180001C4
	;; [unrolled: 1-line block ×32, first 2 shown]
.long 0xBF800001
.long 0x0A505028
	;; [unrolled: 1-line block ×34, first 2 shown]
.long 0xD0CC0030, 0x0001003E
.long 0xD1000020, 0x00C240F2
.long 0xD1000021, 0x00C242F2
.long 0xD3B14028, 0x18025120
.long 0xD0CC0030, 0x0001003E
.long 0xD1000022, 0x00C244F2
.long 0xD1000023, 0x00C246F2
.long 0xD3B1402A, 0x18025522
.long 0xD0CC0030, 0x0001003E
.long 0xD1000024, 0x00C248F2
.long 0xD1000025, 0x00C24AF2
.long 0xD3B1402C, 0x18025924
.long 0xD0CC0030, 0x0001003E
.long 0xD1000026, 0x00C24CF2
.long 0xD1000027, 0x00C24EF2
.long 0xD3B1402E, 0x18025D26
.long 0xD3A00028, 0x14A22829
.long 0xD3A01029, 0x14A62829
.long 0xD3A0002A, 0x14AA2A29
.long 0xD3A0102B, 0x14AE2A29
.long 0xD3A0002C, 0x14B22C29
.long 0xD3A0102D, 0x14B62C29
.long 0xD3A0002E, 0x14BA2E29
.long 0xD3A0102F, 0x14BE2E29
.long 0xD3B24004, 0x18025118
.long 0xD3B24006, 0x1802551A
.long 0xD3B24008, 0x1802591C
.long 0xD3B2400A, 0x18025D1E
.long 0xBEC41E3A
.long 0x7E500304
.long 0x7E520305
.long 0x7E540306
.long 0x7E560307
.long 0x7E580308
.long 0x7E5A0309
.long 0x7E5C030A
.long 0x7E5E030B
.long 0x7E501528
.long 0x7E521529
.long 0xD2A00028, 0x00025328
.long 0x7E54152A
.long 0x7E56152B
.long 0xD2A00029, 0x0002572A
.long 0x7E58152C
.long 0x7E5A152D
.long 0xD2A0002A, 0x00025B2C
.long 0x7E5C152E
.long 0x7E5E152F
.long 0xD2A0002B, 0x00025F2E
.long 0x9246BA20
.long 0x800C460C
.long 0x820D800D
.long 0xE07C1000, 0x8003280D
.long 0xBF8C0F73
.long 0xD0CC0030, 0x0001003E
.long 0xD1000020, 0x00C240F2
.long 0xD1000021, 0x00C242F2
.long 0xD3B14038, 0x18027120
.long 0xD0CC0030, 0x0001003E
.long 0xD1000022, 0x00C244F2
.long 0xD1000023, 0x00C246F2
.long 0xD3B1403A, 0x18027522
.long 0xD0CC0030, 0x0001003E
.long 0xD1000024, 0x00C248F2
.long 0xD1000025, 0x00C24AF2
.long 0xD3B1403C, 0x18027924
.long 0xD0CC0030, 0x0001003E
.long 0xD1000026, 0x00C24CF2
.long 0xD1000027, 0x00C24EF2
.long 0xD3B1403E, 0x18027D26
.long 0xD3A00038, 0x14E26029
.long 0xD3A01039, 0x14E66029
.long 0xD3A0003A, 0x14EA6229
.long 0xD3A0103B, 0x14EE6229
.long 0xD3A0003C, 0x14F26429
.long 0xD3A0103D, 0x14F66429
.long 0xD3A0003E, 0x14FA6629
.long 0xD3A0103F, 0x14FE6629
.long 0xD3B24004, 0x18027118
.long 0xD3B24006, 0x1802751A
.long 0xD3B24008, 0x1802791C
.long 0xD3B2400A, 0x18027D1E
.long 0xBEC41E3A
.long 0x7E700304
.long 0x7E720305
.long 0x7E740306
.long 0x7E760307
.long 0x7E780308
.long 0x7E7A0309
.long 0x7E7C030A
.long 0x7E7E030B
.long 0x7E701538
.long 0x7E721539
.long 0xD2A00038, 0x00027338
.long 0x7E74153A
.long 0x7E76153B
.long 0xD2A00039, 0x0002773A
.long 0x7E78153C
.long 0x7E7A153D
.long 0xD2A0003A, 0x00027B3C
.long 0x7E7C153E
.long 0x7E7E153F
.long 0xD2A0003B, 0x00027F3E
.long 0x8E468120
.long 0x800C460C
.long 0x820D800D
.long 0xE07C1000, 0x8003380D
.long 0xBF8C0F73
	;; [unrolled: 54-line block ×4, first 2 shown]
.long 0x9246BA22
.long 0x80104610
	;; [unrolled: 1-line block ×3, first 2 shown]
.long 0xE05C1000, 0x8004140E
.long 0x924602FF, 0x00000100
	;; [unrolled: 1-line block ×3, first 2 shown]
.long 0x241E1E82
.long 0xD9FE0000, 0x1800000F
.long 0xD9FE0010, 0x1C00000F
	;; [unrolled: 1-line block ×4, first 2 shown]
.long 0x8E468122
.long 0x80104610
.long 0x82118011
.long 0xE05C1000, 0x8004300E
.long 0x8E468122
.long 0x80104610
.long 0x82118011
.long 0xE05C1000, 0x8004340E
	;; [unrolled: 4-line block ×3, first 2 shown]
.long 0xD3D84028, 0x180001E0
.long 0xD3D84029, 0x180001E4
	;; [unrolled: 1-line block ×32, first 2 shown]
.long 0xBF800001
.long 0x0A505028
	;; [unrolled: 1-line block ×34, first 2 shown]
.long 0xD0CC0030, 0x0001003E
.long 0xD1000020, 0x00C240F2
.long 0xD1000021, 0x00C242F2
.long 0xD3B14028, 0x18025120
.long 0xD0CC0030, 0x0001003E
.long 0xD1000022, 0x00C244F2
.long 0xD1000023, 0x00C246F2
.long 0xD3B1402A, 0x18025522
.long 0xD0CC0030, 0x0001003E
.long 0xD1000024, 0x00C248F2
.long 0xD1000025, 0x00C24AF2
.long 0xD3B1402C, 0x18025924
.long 0xD0CC0030, 0x0001003E
.long 0xD1000026, 0x00C24CF2
.long 0xD1000027, 0x00C24EF2
.long 0xD3B1402E, 0x18025D26
.long 0xD3A00028, 0x14A22829
.long 0xD3A01029, 0x14A62829
.long 0xD3A0002A, 0x14AA2A29
.long 0xD3A0102B, 0x14AE2A29
.long 0xD3A0002C, 0x14B22C29
.long 0xD3A0102D, 0x14B62C29
.long 0xD3A0002E, 0x14BA2E29
.long 0xD3A0102F, 0x14BE2E29
.long 0xD3B24004, 0x18025118
.long 0xD3B24006, 0x1802551A
.long 0xD3B24008, 0x1802591C
.long 0xD3B2400A, 0x18025D1E
.long 0xBEC41E3A
.long 0x7E500304
.long 0x7E520305
.long 0x7E540306
.long 0x7E560307
.long 0x7E580308
.long 0x7E5A0309
.long 0x7E5C030A
.long 0x7E5E030B
.long 0x7E501528
.long 0x7E521529
.long 0xD2A00028, 0x00025328
.long 0x7E54152A
.long 0x7E56152B
.long 0xD2A00029, 0x0002572A
.long 0x7E58152C
.long 0x7E5A152D
.long 0xD2A0002A, 0x00025B2C
.long 0x7E5C152E
.long 0x7E5E152F
.long 0xD2A0002B, 0x00025F2E
.long 0x9246BA20
.long 0x800C460C
.long 0x820D800D
.long 0xE07C1000, 0x8003280D
.long 0xBF8C0F73
.long 0xD0CC0030, 0x0001003E
.long 0xD1000020, 0x00C240F2
.long 0xD1000021, 0x00C242F2
.long 0xD3B14038, 0x18027120
.long 0xD0CC0030, 0x0001003E
.long 0xD1000022, 0x00C244F2
.long 0xD1000023, 0x00C246F2
.long 0xD3B1403A, 0x18027522
.long 0xD0CC0030, 0x0001003E
.long 0xD1000024, 0x00C248F2
.long 0xD1000025, 0x00C24AF2
.long 0xD3B1403C, 0x18027924
.long 0xD0CC0030, 0x0001003E
.long 0xD1000026, 0x00C24CF2
.long 0xD1000027, 0x00C24EF2
.long 0xD3B1403E, 0x18027D26
.long 0xD3A00038, 0x14E26029
.long 0xD3A01039, 0x14E66029
.long 0xD3A0003A, 0x14EA6229
.long 0xD3A0103B, 0x14EE6229
.long 0xD3A0003C, 0x14F26429
.long 0xD3A0103D, 0x14F66429
.long 0xD3A0003E, 0x14FA6629
.long 0xD3A0103F, 0x14FE6629
.long 0xD3B24004, 0x18027118
.long 0xD3B24006, 0x1802751A
.long 0xD3B24008, 0x1802791C
.long 0xD3B2400A, 0x18027D1E
.long 0xBEC41E3A
.long 0x7E700304
.long 0x7E720305
.long 0x7E740306
.long 0x7E760307
.long 0x7E780308
.long 0x7E7A0309
.long 0x7E7C030A
.long 0x7E7E030B
.long 0x7E701538
.long 0x7E721539
.long 0xD2A00038, 0x00027338
.long 0x7E74153A
.long 0x7E76153B
.long 0xD2A00039, 0x0002773A
.long 0x7E78153C
.long 0x7E7A153D
.long 0xD2A0003A, 0x00027B3C
.long 0x7E7C153E
.long 0x7E7E153F
.long 0xD2A0003B, 0x00027F3E
.long 0x8E468120
.long 0x800C460C
.long 0x820D800D
.long 0xE07C1000, 0x8003380D
.long 0xBF8C0F73
	;; [unrolled: 54-line block ×4, first 2 shown]
.long 0x9246BA22
.long 0x80104610
	;; [unrolled: 1-line block ×3, first 2 shown]
.long 0xE05C1000, 0x8004140E
.long 0x924602FF, 0x00000100
	;; [unrolled: 1-line block ×3, first 2 shown]
.long 0x241E1E82
.long 0xD9FE0000, 0x1800000F
.long 0xD9FE0010, 0x1C00000F
.long 0xE05C1000, 0x800F2010
.long 0xE05C1010, 0x800F2410
.long 0x8E468122
.long 0x80104610
.long 0x82118011
.long 0xE05C1000, 0x8004300E
.long 0x8E468122
.long 0x80104610
.long 0x82118011
.long 0xE05C1000, 0x8004340E
	;; [unrolled: 4-line block ×3, first 2 shown]
.long 0x7E50038C
.long 0x7E520390
	;; [unrolled: 1-line block ×66, first 2 shown]
.long 0xD0CC0030, 0x0001003E
.long 0xD1000020, 0x00C240F2
.long 0xD1000021, 0x00C242F2
.long 0xD3B14028, 0x18025120
.long 0xD0CC0030, 0x0001003E
.long 0xD1000022, 0x00C244F2
.long 0xD1000023, 0x00C246F2
.long 0xD3B1402A, 0x18025522
.long 0xD0CC0030, 0x0001003E
.long 0xD1000024, 0x00C248F2
.long 0xD1000025, 0x00C24AF2
.long 0xD3B1402C, 0x18025924
.long 0xD0CC0030, 0x0001003E
.long 0xD1000026, 0x00C24CF2
.long 0xD1000027, 0x00C24EF2
.long 0xD3B1402E, 0x18025D26
.long 0xD3A00028, 0x14A22829
.long 0xD3A01029, 0x14A62829
.long 0xD3A0002A, 0x14AA2A29
.long 0xD3A0102B, 0x14AE2A29
.long 0xD3A0002C, 0x14B22C29
.long 0xD3A0102D, 0x14B62C29
.long 0xD3A0002E, 0x14BA2E29
.long 0xD3A0102F, 0x14BE2E29
.long 0xD3B24004, 0x18025118
.long 0xD3B24006, 0x1802551A
.long 0xD3B24008, 0x1802591C
.long 0xD3B2400A, 0x18025D1E
.long 0xBEC41E3A
.long 0x7E500304
.long 0x7E520305
.long 0x7E540306
.long 0x7E560307
.long 0x7E580308
.long 0x7E5A0309
.long 0x7E5C030A
.long 0x7E5E030B
.long 0x7E501528
.long 0x7E521529
.long 0xD2A00028, 0x00025328
.long 0x7E54152A
.long 0x7E56152B
.long 0xD2A00029, 0x0002572A
.long 0x7E58152C
.long 0x7E5A152D
.long 0xD2A0002A, 0x00025B2C
.long 0x7E5C152E
.long 0x7E5E152F
.long 0xD2A0002B, 0x00025F2E
.long 0x9246BA20
.long 0x800C460C
.long 0x820D800D
.long 0xE07C1000, 0x8003280D
.long 0xBF8C0F73
.long 0xD0CC0030, 0x0001003E
.long 0xD1000020, 0x00C240F2
.long 0xD1000021, 0x00C242F2
.long 0xD3B14038, 0x18027120
.long 0xD0CC0030, 0x0001003E
.long 0xD1000022, 0x00C244F2
.long 0xD1000023, 0x00C246F2
.long 0xD3B1403A, 0x18027522
.long 0xD0CC0030, 0x0001003E
.long 0xD1000024, 0x00C248F2
.long 0xD1000025, 0x00C24AF2
.long 0xD3B1403C, 0x18027924
.long 0xD0CC0030, 0x0001003E
.long 0xD1000026, 0x00C24CF2
.long 0xD1000027, 0x00C24EF2
.long 0xD3B1403E, 0x18027D26
.long 0xD3A00038, 0x14E26029
.long 0xD3A01039, 0x14E66029
.long 0xD3A0003A, 0x14EA6229
.long 0xD3A0103B, 0x14EE6229
.long 0xD3A0003C, 0x14F26429
.long 0xD3A0103D, 0x14F66429
.long 0xD3A0003E, 0x14FA6629
.long 0xD3A0103F, 0x14FE6629
.long 0xD3B24004, 0x18027118
.long 0xD3B24006, 0x1802751A
.long 0xD3B24008, 0x1802791C
.long 0xD3B2400A, 0x18027D1E
.long 0xBEC41E3A
.long 0x7E700304
.long 0x7E720305
.long 0x7E740306
.long 0x7E760307
.long 0x7E780308
.long 0x7E7A0309
.long 0x7E7C030A
.long 0x7E7E030B
.long 0x7E701538
.long 0x7E721539
.long 0xD2A00038, 0x00027338
.long 0x7E74153A
.long 0x7E76153B
.long 0xD2A00039, 0x0002773A
.long 0x7E78153C
.long 0x7E7A153D
.long 0xD2A0003A, 0x00027B3C
.long 0x7E7C153E
.long 0x7E7E153F
.long 0xD2A0003B, 0x00027F3E
.long 0x8E468120
.long 0x800C460C
.long 0x820D800D
.long 0xE07C1000, 0x8003380D
.long 0xBF8C0F73
.long 0xD0CC0030, 0x0001003E
.long 0xD1000020, 0x00C240F2
.long 0xD1000021, 0x00C242F2
.long 0xD3B14040, 0x18028120
.long 0xD0CC0030, 0x0001003E
.long 0xD1000022, 0x00C244F2
.long 0xD1000023, 0x00C246F2
.long 0xD3B14042, 0x18028522
.long 0xD0CC0030, 0x0001003E
.long 0xD1000024, 0x00C248F2
.long 0xD1000025, 0x00C24AF2
.long 0xD3B14044, 0x18028924
.long 0xD0CC0030, 0x0001003E
.long 0xD1000026, 0x00C24CF2
.long 0xD1000027, 0x00C24EF2
.long 0xD3B14046, 0x18028D26
.long 0xD3A00040, 0x15026829
.long 0xD3A01041, 0x15066829
.long 0xD3A00042, 0x150A6A29
.long 0xD3A01043, 0x150E6A29
.long 0xD3A00044, 0x15126C29
.long 0xD3A01045, 0x15166C29
.long 0xD3A00046, 0x151A6E29
.long 0xD3A01047, 0x151E6E29
.long 0xD3B24004, 0x18028118
.long 0xD3B24006, 0x1802851A
.long 0xD3B24008, 0x1802891C
.long 0xD3B2400A, 0x18028D1E
.long 0xBEC41E3A
.long 0x7E800304
.long 0x7E820305
.long 0x7E840306
.long 0x7E860307
.long 0x7E880308
.long 0x7E8A0309
.long 0x7E8C030A
.long 0x7E8E030B
.long 0x7E801540
.long 0x7E821541
.long 0xD2A00040, 0x00028340
.long 0x7E841542
.long 0x7E861543
.long 0xD2A00041, 0x00028742
.long 0x7E881544
.long 0x7E8A1545
.long 0xD2A00042, 0x00028B44
.long 0x7E8C1546
.long 0x7E8E1547
.long 0xD2A00043, 0x00028F46
.long 0x8E468120
.long 0x800C460C
.long 0x820D800D
.long 0xE07C1000, 0x8003400D
.long 0xBF8C0F73
.long 0xD0CC0030, 0x0001003E
.long 0xD1000020, 0x00C240F2
.long 0xD1000021, 0x00C242F2
.long 0xD3B14050, 0x1802A120
.long 0xD0CC0030, 0x0001003E
.long 0xD1000022, 0x00C244F2
.long 0xD1000023, 0x00C246F2
.long 0xD3B14052, 0x1802A522
.long 0xD0CC0030, 0x0001003E
.long 0xD1000024, 0x00C248F2
.long 0xD1000025, 0x00C24AF2
.long 0xD3B14054, 0x1802A924
.long 0xD0CC0030, 0x0001003E
.long 0xD1000026, 0x00C24CF2
.long 0xD1000027, 0x00C24EF2
.long 0xD3B14056, 0x1802AD26
.long 0xD3A00050, 0x15429029
.long 0xD3A01051, 0x15469029
.long 0xD3A00052, 0x154A9229
.long 0xD3A01053, 0x154E9229
.long 0xD3A00054, 0x15529429
.long 0xD3A01055, 0x15569429
.long 0xD3A00056, 0x155A9629
.long 0xD3A01057, 0x155E9629
.long 0xD3B24004, 0x1802A118
.long 0xD3B24006, 0x1802A51A
.long 0xD3B24008, 0x1802A91C
.long 0xD3B2400A, 0x1802AD1E
.long 0xBEC41E3A
.long 0x7EA00304
.long 0x7EA20305
.long 0x7EA40306
.long 0x7EA60307
.long 0x7EA80308
.long 0x7EAA0309
.long 0x7EAC030A
.long 0x7EAE030B
.long 0x7EA01550
.long 0x7EA21551
.long 0xD2A00050, 0x0002A350
.long 0x7EA41552
.long 0x7EA61553
.long 0xD2A00051, 0x0002A752
.long 0x7EA81554
.long 0x7EAA1555
.long 0xD2A00052, 0x0002AB54
.long 0x7EAC1556
.long 0x7EAE1557
.long 0xD2A00053, 0x0002AF56
.long 0x8E468120
.long 0x800C460C
.long 0x820D800D
.long 0xE07C1000, 0x8003500D
.long 0xBF800000
.long 0x9246BA22
.long 0x80104610
	;; [unrolled: 1-line block ×3, first 2 shown]
.long 0xE05C1000, 0x8004140E
.long 0x924602FF, 0x00000100
	;; [unrolled: 1-line block ×3, first 2 shown]
.long 0x241E1E82
.long 0xD9FE0000, 0x1800000F
.long 0xD9FE0010, 0x1C00000F
	;; [unrolled: 1-line block ×4, first 2 shown]
.long 0x8E468122
.long 0x80104610
.long 0x82118011
.long 0xE05C1000, 0x8004300E
.long 0x8E468122
.long 0x80104610
.long 0x82118011
.long 0xE05C1000, 0x8004340E
	;; [unrolled: 4-line block ×3, first 2 shown]
.long 0x7E5003AC
.long 0x7E5203B0
	;; [unrolled: 1-line block ×66, first 2 shown]
.long 0xD0CC0030, 0x0001003E
.long 0xD1000020, 0x00C240F2
.long 0xD1000021, 0x00C242F2
.long 0xD3B14028, 0x18025120
.long 0xD0CC0030, 0x0001003E
.long 0xD1000022, 0x00C244F2
.long 0xD1000023, 0x00C246F2
.long 0xD3B1402A, 0x18025522
.long 0xD0CC0030, 0x0001003E
.long 0xD1000024, 0x00C248F2
.long 0xD1000025, 0x00C24AF2
.long 0xD3B1402C, 0x18025924
.long 0xD0CC0030, 0x0001003E
.long 0xD1000026, 0x00C24CF2
.long 0xD1000027, 0x00C24EF2
.long 0xD3B1402E, 0x18025D26
.long 0xD3A00028, 0x14A22829
.long 0xD3A01029, 0x14A62829
.long 0xD3A0002A, 0x14AA2A29
.long 0xD3A0102B, 0x14AE2A29
.long 0xD3A0002C, 0x14B22C29
.long 0xD3A0102D, 0x14B62C29
.long 0xD3A0002E, 0x14BA2E29
.long 0xD3A0102F, 0x14BE2E29
.long 0xD3B24004, 0x18025118
.long 0xD3B24006, 0x1802551A
.long 0xD3B24008, 0x1802591C
.long 0xD3B2400A, 0x18025D1E
.long 0xBEC41E3A
.long 0x7E500304
.long 0x7E520305
.long 0x7E540306
.long 0x7E560307
.long 0x7E580308
.long 0x7E5A0309
.long 0x7E5C030A
.long 0x7E5E030B
.long 0x7E501528
.long 0x7E521529
.long 0xD2A00028, 0x00025328
.long 0x7E54152A
.long 0x7E56152B
.long 0xD2A00029, 0x0002572A
.long 0x7E58152C
.long 0x7E5A152D
.long 0xD2A0002A, 0x00025B2C
.long 0x7E5C152E
.long 0x7E5E152F
.long 0xD2A0002B, 0x00025F2E
.long 0x9246BA20
.long 0x800C460C
.long 0x820D800D
.long 0xE07C1000, 0x8003280D
.long 0xBF8C0F73
.long 0xD0CC0030, 0x0001003E
.long 0xD1000020, 0x00C240F2
.long 0xD1000021, 0x00C242F2
.long 0xD3B14038, 0x18027120
.long 0xD0CC0030, 0x0001003E
.long 0xD1000022, 0x00C244F2
.long 0xD1000023, 0x00C246F2
.long 0xD3B1403A, 0x18027522
.long 0xD0CC0030, 0x0001003E
.long 0xD1000024, 0x00C248F2
.long 0xD1000025, 0x00C24AF2
.long 0xD3B1403C, 0x18027924
.long 0xD0CC0030, 0x0001003E
.long 0xD1000026, 0x00C24CF2
.long 0xD1000027, 0x00C24EF2
.long 0xD3B1403E, 0x18027D26
.long 0xD3A00038, 0x14E26029
.long 0xD3A01039, 0x14E66029
.long 0xD3A0003A, 0x14EA6229
.long 0xD3A0103B, 0x14EE6229
.long 0xD3A0003C, 0x14F26429
.long 0xD3A0103D, 0x14F66429
.long 0xD3A0003E, 0x14FA6629
.long 0xD3A0103F, 0x14FE6629
.long 0xD3B24004, 0x18027118
.long 0xD3B24006, 0x1802751A
.long 0xD3B24008, 0x1802791C
.long 0xD3B2400A, 0x18027D1E
.long 0xBEC41E3A
.long 0x7E700304
.long 0x7E720305
.long 0x7E740306
.long 0x7E760307
.long 0x7E780308
.long 0x7E7A0309
.long 0x7E7C030A
.long 0x7E7E030B
.long 0x7E701538
.long 0x7E721539
.long 0xD2A00038, 0x00027338
.long 0x7E74153A
.long 0x7E76153B
.long 0xD2A00039, 0x0002773A
.long 0x7E78153C
.long 0x7E7A153D
.long 0xD2A0003A, 0x00027B3C
.long 0x7E7C153E
.long 0x7E7E153F
.long 0xD2A0003B, 0x00027F3E
.long 0x8E468120
.long 0x800C460C
.long 0x820D800D
.long 0xE07C1000, 0x8003380D
.long 0xBF8C0F73
.long 0xD0CC0030, 0x0001003E
.long 0xD1000020, 0x00C240F2
.long 0xD1000021, 0x00C242F2
.long 0xD3B14040, 0x18028120
.long 0xD0CC0030, 0x0001003E
.long 0xD1000022, 0x00C244F2
.long 0xD1000023, 0x00C246F2
.long 0xD3B14042, 0x18028522
.long 0xD0CC0030, 0x0001003E
.long 0xD1000024, 0x00C248F2
.long 0xD1000025, 0x00C24AF2
.long 0xD3B14044, 0x18028924
.long 0xD0CC0030, 0x0001003E
.long 0xD1000026, 0x00C24CF2
.long 0xD1000027, 0x00C24EF2
.long 0xD3B14046, 0x18028D26
.long 0xD3A00040, 0x15026829
.long 0xD3A01041, 0x15066829
.long 0xD3A00042, 0x150A6A29
.long 0xD3A01043, 0x150E6A29
.long 0xD3A00044, 0x15126C29
.long 0xD3A01045, 0x15166C29
.long 0xD3A00046, 0x151A6E29
.long 0xD3A01047, 0x151E6E29
.long 0xD3B24004, 0x18028118
.long 0xD3B24006, 0x1802851A
.long 0xD3B24008, 0x1802891C
.long 0xD3B2400A, 0x18028D1E
.long 0xBEC41E3A
.long 0x7E800304
.long 0x7E820305
.long 0x7E840306
.long 0x7E860307
.long 0x7E880308
.long 0x7E8A0309
.long 0x7E8C030A
.long 0x7E8E030B
.long 0x7E801540
.long 0x7E821541
.long 0xD2A00040, 0x00028340
.long 0x7E841542
.long 0x7E861543
.long 0xD2A00041, 0x00028742
.long 0x7E881544
.long 0x7E8A1545
.long 0xD2A00042, 0x00028B44
.long 0x7E8C1546
.long 0x7E8E1547
.long 0xD2A00043, 0x00028F46
.long 0x8E468120
.long 0x800C460C
.long 0x820D800D
.long 0xE07C1000, 0x8003400D
.long 0xBF8C0F73
.long 0xD0CC0030, 0x0001003E
.long 0xD1000020, 0x00C240F2
.long 0xD1000021, 0x00C242F2
.long 0xD3B14050, 0x1802A120
.long 0xD0CC0030, 0x0001003E
.long 0xD1000022, 0x00C244F2
.long 0xD1000023, 0x00C246F2
.long 0xD3B14052, 0x1802A522
.long 0xD0CC0030, 0x0001003E
.long 0xD1000024, 0x00C248F2
.long 0xD1000025, 0x00C24AF2
.long 0xD3B14054, 0x1802A924
.long 0xD0CC0030, 0x0001003E
.long 0xD1000026, 0x00C24CF2
.long 0xD1000027, 0x00C24EF2
.long 0xD3B14056, 0x1802AD26
.long 0xD3A00050, 0x15429029
.long 0xD3A01051, 0x15469029
.long 0xD3A00052, 0x154A9229
.long 0xD3A01053, 0x154E9229
.long 0xD3A00054, 0x15529429
.long 0xD3A01055, 0x15569429
.long 0xD3A00056, 0x155A9629
.long 0xD3A01057, 0x155E9629
.long 0xD3B24004, 0x1802A118
.long 0xD3B24006, 0x1802A51A
.long 0xD3B24008, 0x1802A91C
.long 0xD3B2400A, 0x1802AD1E
.long 0xBEC41E3A
.long 0x7EA00304
.long 0x7EA20305
.long 0x7EA40306
.long 0x7EA60307
.long 0x7EA80308
.long 0x7EAA0309
.long 0x7EAC030A
.long 0x7EAE030B
.long 0x7EA01550
.long 0x7EA21551
.long 0xD2A00050, 0x0002A350
.long 0x7EA41552
.long 0x7EA61553
.long 0xD2A00051, 0x0002A752
.long 0x7EA81554
.long 0x7EAA1555
.long 0xD2A00052, 0x0002AB54
.long 0x7EAC1556
.long 0x7EAE1557
.long 0xD2A00053, 0x0002AF56
.long 0x8E468120
.long 0x800C460C
.long 0x820D800D
.long 0xE07C1000, 0x8003500D
.long 0xBF800000
.long 0x9246BA22
.long 0x80104610
	;; [unrolled: 1-line block ×3, first 2 shown]
.long 0xE05C1000, 0x8004140E
.long 0x924602FF, 0x00000100
	;; [unrolled: 1-line block ×3, first 2 shown]
.long 0x241E1E82
.long 0xD9FE0000, 0x1800000F
.long 0xD9FE0010, 0x1C00000F
	;; [unrolled: 1-line block ×4, first 2 shown]
.long 0x8E468122
.long 0x80104610
.long 0x82118011
.long 0xE05C1000, 0x8004300E
.long 0x8E468122
.long 0x80104610
.long 0x82118011
.long 0xE05C1000, 0x8004340E
	;; [unrolled: 4-line block ×3, first 2 shown]
.long 0x7E5003CC
.long 0x7E5203D0
	;; [unrolled: 1-line block ×66, first 2 shown]
.long 0xD0CC0030, 0x0001003E
.long 0xD1000020, 0x00C240F2
.long 0xD1000021, 0x00C242F2
.long 0xD3B14028, 0x18025120
.long 0xD0CC0030, 0x0001003E
.long 0xD1000022, 0x00C244F2
.long 0xD1000023, 0x00C246F2
.long 0xD3B1402A, 0x18025522
.long 0xD0CC0030, 0x0001003E
.long 0xD1000024, 0x00C248F2
.long 0xD1000025, 0x00C24AF2
.long 0xD3B1402C, 0x18025924
.long 0xD0CC0030, 0x0001003E
.long 0xD1000026, 0x00C24CF2
.long 0xD1000027, 0x00C24EF2
.long 0xD3B1402E, 0x18025D26
.long 0xD3A00028, 0x14A22829
.long 0xD3A01029, 0x14A62829
.long 0xD3A0002A, 0x14AA2A29
.long 0xD3A0102B, 0x14AE2A29
.long 0xD3A0002C, 0x14B22C29
.long 0xD3A0102D, 0x14B62C29
.long 0xD3A0002E, 0x14BA2E29
.long 0xD3A0102F, 0x14BE2E29
.long 0xD3B24004, 0x18025118
.long 0xD3B24006, 0x1802551A
.long 0xD3B24008, 0x1802591C
.long 0xD3B2400A, 0x18025D1E
.long 0xBEC41E3A
.long 0x7E500304
.long 0x7E520305
.long 0x7E540306
.long 0x7E560307
.long 0x7E580308
.long 0x7E5A0309
.long 0x7E5C030A
.long 0x7E5E030B
.long 0x7E501528
.long 0x7E521529
.long 0xD2A00028, 0x00025328
.long 0x7E54152A
.long 0x7E56152B
.long 0xD2A00029, 0x0002572A
.long 0x7E58152C
.long 0x7E5A152D
.long 0xD2A0002A, 0x00025B2C
.long 0x7E5C152E
.long 0x7E5E152F
.long 0xD2A0002B, 0x00025F2E
.long 0x9246BA20
.long 0x800C460C
.long 0x820D800D
.long 0xE07C1000, 0x8003280D
.long 0xBF8C0F73
.long 0xD0CC0030, 0x0001003E
.long 0xD1000020, 0x00C240F2
.long 0xD1000021, 0x00C242F2
.long 0xD3B14038, 0x18027120
.long 0xD0CC0030, 0x0001003E
.long 0xD1000022, 0x00C244F2
.long 0xD1000023, 0x00C246F2
.long 0xD3B1403A, 0x18027522
.long 0xD0CC0030, 0x0001003E
.long 0xD1000024, 0x00C248F2
.long 0xD1000025, 0x00C24AF2
.long 0xD3B1403C, 0x18027924
.long 0xD0CC0030, 0x0001003E
.long 0xD1000026, 0x00C24CF2
.long 0xD1000027, 0x00C24EF2
.long 0xD3B1403E, 0x18027D26
.long 0xD3A00038, 0x14E26029
.long 0xD3A01039, 0x14E66029
.long 0xD3A0003A, 0x14EA6229
.long 0xD3A0103B, 0x14EE6229
.long 0xD3A0003C, 0x14F26429
.long 0xD3A0103D, 0x14F66429
.long 0xD3A0003E, 0x14FA6629
.long 0xD3A0103F, 0x14FE6629
.long 0xD3B24004, 0x18027118
.long 0xD3B24006, 0x1802751A
.long 0xD3B24008, 0x1802791C
.long 0xD3B2400A, 0x18027D1E
.long 0xBEC41E3A
.long 0x7E700304
.long 0x7E720305
.long 0x7E740306
.long 0x7E760307
.long 0x7E780308
.long 0x7E7A0309
.long 0x7E7C030A
.long 0x7E7E030B
.long 0x7E701538
.long 0x7E721539
.long 0xD2A00038, 0x00027338
.long 0x7E74153A
.long 0x7E76153B
.long 0xD2A00039, 0x0002773A
.long 0x7E78153C
.long 0x7E7A153D
.long 0xD2A0003A, 0x00027B3C
.long 0x7E7C153E
.long 0x7E7E153F
.long 0xD2A0003B, 0x00027F3E
.long 0x8E468120
.long 0x800C460C
.long 0x820D800D
.long 0xE07C1000, 0x8003380D
.long 0xBF8C0F73
	;; [unrolled: 54-line block ×4, first 2 shown]
.long 0xBF821A30
.long 0x7E2E02FF, 0x80000000
.long 0xD0C90046, 0x00002900
	;; [unrolled: 1-line block ×3, first 2 shown]
.long 0x86CA4A46
.long 0xD1FE000D, 0x02060102
.long 0xD100000D, 0x012A1B17
	;; [unrolled: 1-line block ×5, first 2 shown]
.long 0x241C1C82
.long 0xD100000E, 0x012A1D17
.long 0xBF8CC07F
.long 0xBF8A0000
.long 0xD9FE0000, 0x1800000E
.long 0xD9FE0010, 0x1C00000E
.long 0x241E0082
.long 0xE05C1000, 0x800F200F
.long 0xE05C1010, 0x800F240F
	;; [unrolled: 1-line block ×9, first 2 shown]
.long 0x86CA4A46
.long 0xD1FE0014, 0x02060102
.long 0xD1000014, 0x012A2917
	;; [unrolled: 1-line block ×5, first 2 shown]
.long 0x242A2A82
.long 0xD1000015, 0x012A2B17
.long 0x242C0082
.long 0xD1FE0014, 0x02060103
.long 0xD1000014, 0x012A2917
.long 0xD3D84028, 0x18000100
.long 0xD3D84029, 0x18000104
.long 0xD3D8402A, 0x18000108
.long 0xD3D8402B, 0x1800010C
.long 0xD3D8402C, 0x18000110
.long 0xD3D8402D, 0x18000114
.long 0xD3D8402E, 0x18000118
.long 0xD3D8402F, 0x1800011C
.long 0xD3D84038, 0x18000101
.long 0xD3D84039, 0x18000105
.long 0xD3D8403A, 0x18000109
.long 0xD3D8403B, 0x1800010D
.long 0xD3D8403C, 0x18000111
.long 0xD3D8403D, 0x18000115
.long 0xD3D8403E, 0x18000119
.long 0xD3D8403F, 0x1800011D
.long 0xBF800001
.long 0x0A505028
	;; [unrolled: 1-line block ×18, first 2 shown]
.long 0xD0CC0030, 0x0001003E
.long 0xD1000020, 0x00C240F2
	;; [unrolled: 1-line block ×28, first 2 shown]
.long 0xBEC41E3A
.long 0x7E500304
	;; [unrolled: 1-line block ×11, first 2 shown]
.long 0xD2A00028, 0x00025328
.long 0x7E54152A
.long 0x7E56152B
.long 0xD2A00029, 0x0002572A
.long 0x7E58152C
.long 0x7E5A152D
	;; [unrolled: 3-line block ×3, first 2 shown]
.long 0xD2A0002B, 0x00025F2E
.long 0xE07C1000, 0x8003280D
.long 0xD0CC0030, 0x0001003E
.long 0xD1000020, 0x00C240F2
.long 0xD1000021, 0x00C242F2
.long 0xD3B14038, 0x18027120
.long 0xD0CC0030, 0x0001003E
.long 0xD1000022, 0x00C244F2
.long 0xD1000023, 0x00C246F2
.long 0xD3B1403A, 0x18027522
.long 0xD0CC0030, 0x0001003E
.long 0xD1000024, 0x00C248F2
.long 0xD1000025, 0x00C24AF2
.long 0xD3B1403C, 0x18027924
.long 0xD0CC0030, 0x0001003E
.long 0xD1000026, 0x00C24CF2
.long 0xD1000027, 0x00C24EF2
.long 0xD3B1403E, 0x18027D26
.long 0xD3A00038, 0x14E26029
.long 0xD3A01039, 0x14E66029
.long 0xD3A0003A, 0x14EA6229
.long 0xD3A0103B, 0x14EE6229
.long 0xD3A0003C, 0x14F26429
.long 0xD3A0103D, 0x14F66429
.long 0xD3A0003E, 0x14FA6629
.long 0xD3A0103F, 0x14FE6629
.long 0xD3B24004, 0x18027118
.long 0xD3B24006, 0x1802751A
.long 0xD3B24008, 0x1802791C
.long 0xD3B2400A, 0x18027D1E
.long 0xBEC41E3A
.long 0x7E700304
.long 0x7E720305
.long 0x7E740306
.long 0x7E760307
.long 0x7E780308
.long 0x7E7A0309
.long 0x7E7C030A
.long 0x7E7E030B
.long 0x7E701538
.long 0x7E721539
.long 0xD2A00038, 0x00027338
.long 0x7E74153A
.long 0x7E76153B
.long 0xD2A00039, 0x0002773A
.long 0x7E78153C
.long 0x7E7A153D
	;; [unrolled: 3-line block ×3, first 2 shown]
.long 0xD2A0003B, 0x00027F3E
.long 0xE07C1000, 0x80033814
.long 0xBF800000
.long 0x7E2E02FF, 0x80000000
.long 0xD1196A01, 0x00010301
	;; [unrolled: 1-line block ×6, first 2 shown]
.long 0x86CA4A46
.long 0xD1FE000D, 0x02060102
.long 0xD100000D, 0x012A1B17
	;; [unrolled: 1-line block ×5, first 2 shown]
.long 0x241C1C82
.long 0xD100000E, 0x012A1D17
.long 0xD9FE0000, 0x1800000E
	;; [unrolled: 1-line block ×3, first 2 shown]
.long 0x241E0082
.long 0xE05C1000, 0x800F200F
.long 0xE05C1010, 0x800F240F
	;; [unrolled: 1-line block ×9, first 2 shown]
.long 0x86CA4A46
.long 0xD1FE0014, 0x02060102
.long 0xD1000014, 0x012A2917
	;; [unrolled: 1-line block ×5, first 2 shown]
.long 0x242A2A82
.long 0xD1000015, 0x012A2B17
.long 0x242C0082
.long 0xD1FE0014, 0x02060103
.long 0xD1000014, 0x012A2917
	;; [unrolled: 1-line block ×18, first 2 shown]
.long 0xBF800001
.long 0x0A505028
	;; [unrolled: 1-line block ×18, first 2 shown]
.long 0xD0CC0030, 0x0001003E
.long 0xD1000020, 0x00C240F2
	;; [unrolled: 1-line block ×28, first 2 shown]
.long 0xBEC41E3A
.long 0x7E500304
	;; [unrolled: 1-line block ×11, first 2 shown]
.long 0xD2A00028, 0x00025328
.long 0x7E54152A
.long 0x7E56152B
.long 0xD2A00029, 0x0002572A
.long 0x7E58152C
.long 0x7E5A152D
	;; [unrolled: 3-line block ×3, first 2 shown]
.long 0xD2A0002B, 0x00025F2E
.long 0xE07C1000, 0x8003280D
.long 0xD0CC0030, 0x0001003E
.long 0xD1000020, 0x00C240F2
.long 0xD1000021, 0x00C242F2
.long 0xD3B14038, 0x18027120
.long 0xD0CC0030, 0x0001003E
.long 0xD1000022, 0x00C244F2
.long 0xD1000023, 0x00C246F2
.long 0xD3B1403A, 0x18027522
.long 0xD0CC0030, 0x0001003E
.long 0xD1000024, 0x00C248F2
.long 0xD1000025, 0x00C24AF2
.long 0xD3B1403C, 0x18027924
.long 0xD0CC0030, 0x0001003E
.long 0xD1000026, 0x00C24CF2
.long 0xD1000027, 0x00C24EF2
.long 0xD3B1403E, 0x18027D26
.long 0xD3A00038, 0x14E26029
.long 0xD3A01039, 0x14E66029
.long 0xD3A0003A, 0x14EA6229
.long 0xD3A0103B, 0x14EE6229
.long 0xD3A0003C, 0x14F26429
.long 0xD3A0103D, 0x14F66429
.long 0xD3A0003E, 0x14FA6629
.long 0xD3A0103F, 0x14FE6629
.long 0xD3B24004, 0x18027118
.long 0xD3B24006, 0x1802751A
.long 0xD3B24008, 0x1802791C
.long 0xD3B2400A, 0x18027D1E
.long 0xBEC41E3A
.long 0x7E700304
.long 0x7E720305
.long 0x7E740306
.long 0x7E760307
.long 0x7E780308
.long 0x7E7A0309
.long 0x7E7C030A
.long 0x7E7E030B
.long 0x7E701538
.long 0x7E721539
.long 0xD2A00038, 0x00027338
.long 0x7E74153A
.long 0x7E76153B
.long 0xD2A00039, 0x0002773A
.long 0x7E78153C
.long 0x7E7A153D
	;; [unrolled: 3-line block ×3, first 2 shown]
.long 0xD2A0003B, 0x00027F3E
.long 0xE07C1000, 0x80033814
.long 0xBF800000
.long 0x7E2E02FF, 0x80000000
.long 0xD1196A01, 0x00013B01
.long 0x92469D22
.long 0xD1340002, 0x00008D02
.long 0x92469D20
.long 0xD1340003, 0x00008D03
.long 0xD0C90046, 0x00002900
	;; [unrolled: 1-line block ×3, first 2 shown]
.long 0x86CA4A46
.long 0xD1FE000D, 0x02060102
.long 0xD100000D, 0x012A1B17
	;; [unrolled: 1-line block ×5, first 2 shown]
.long 0x241C1C82
.long 0xD100000E, 0x012A1D17
.long 0xD9FE0000, 0x1800000E
	;; [unrolled: 1-line block ×3, first 2 shown]
.long 0x241E0082
.long 0xE05C1000, 0x800F200F
.long 0xE05C1010, 0x800F240F
	;; [unrolled: 1-line block ×9, first 2 shown]
.long 0x86CA4A46
.long 0xD1FE0014, 0x02060102
.long 0xD1000014, 0x012A2917
	;; [unrolled: 1-line block ×5, first 2 shown]
.long 0x242A2A82
.long 0xD1000015, 0x012A2B17
.long 0x242C0082
.long 0xD1FE0014, 0x02060103
.long 0xD1000014, 0x012A2917
	;; [unrolled: 1-line block ×18, first 2 shown]
.long 0xBF800001
.long 0x0A505028
	;; [unrolled: 1-line block ×18, first 2 shown]
.long 0xD0CC0030, 0x0001003E
.long 0xD1000020, 0x00C240F2
	;; [unrolled: 1-line block ×28, first 2 shown]
.long 0xBEC41E3A
.long 0x7E500304
	;; [unrolled: 1-line block ×11, first 2 shown]
.long 0xD2A00028, 0x00025328
.long 0x7E54152A
.long 0x7E56152B
.long 0xD2A00029, 0x0002572A
.long 0x7E58152C
.long 0x7E5A152D
	;; [unrolled: 3-line block ×3, first 2 shown]
.long 0xD2A0002B, 0x00025F2E
.long 0xE07C1000, 0x8003280D
	;; [unrolled: 1-line block ×30, first 2 shown]
.long 0xBEC41E3A
.long 0x7E700304
	;; [unrolled: 1-line block ×11, first 2 shown]
.long 0xD2A00038, 0x00027338
.long 0x7E74153A
.long 0x7E76153B
.long 0xD2A00039, 0x0002773A
.long 0x7E78153C
.long 0x7E7A153D
	;; [unrolled: 3-line block ×3, first 2 shown]
.long 0xD2A0003B, 0x00027F3E
.long 0xE07C1000, 0x80033814
.long 0xBF800000
.long 0x7E2E02FF, 0x80000000
.long 0xD1196A01, 0x00010301
.long 0xD1340002, 0x00004502
.long 0xD1340003, 0x00004103
.long 0xD0C90046, 0x00002900
.long 0xD0C9004A, 0x00002B01
.long 0x86CA4A46
.long 0xD1FE000D, 0x02060102
.long 0xD100000D, 0x012A1B17
	;; [unrolled: 1-line block ×5, first 2 shown]
.long 0x241C1C82
.long 0xD100000E, 0x012A1D17
.long 0xD9FE0000, 0x1800000E
	;; [unrolled: 1-line block ×3, first 2 shown]
.long 0x241E0082
.long 0xE05C1000, 0x800F200F
.long 0xE05C1010, 0x800F240F
	;; [unrolled: 1-line block ×9, first 2 shown]
.long 0x86CA4A46
.long 0xD1FE0014, 0x02060102
.long 0xD1000014, 0x012A2917
	;; [unrolled: 1-line block ×5, first 2 shown]
.long 0x242A2A82
.long 0xD1000015, 0x012A2B17
.long 0x242C0082
.long 0xD1FE0014, 0x02060103
.long 0xD1000014, 0x012A2917
	;; [unrolled: 1-line block ×18, first 2 shown]
.long 0xBF800001
.long 0x0A505028
.long 0x0A525228
.long 0x0A545428
.long 0x0A565628
.long 0x0A585828
.long 0x0A5A5A28
.long 0x0A5C5C28
.long 0x0A5E5E28
.long 0x0A707028
.long 0x0A727228
.long 0x0A747428
.long 0x0A767628
.long 0x0A787828
.long 0x0A7A7A28
.long 0x0A7C7C28
.long 0x0A7E7E28
.long 0xBF8C0000
.long 0xD0CC0030, 0x0001003E
.long 0xD1000020, 0x00C240F2
	;; [unrolled: 1-line block ×28, first 2 shown]
.long 0xBEC41E3A
.long 0x7E500304
.long 0x7E520305
.long 0x7E540306
.long 0x7E560307
.long 0x7E580308
.long 0x7E5A0309
.long 0x7E5C030A
.long 0x7E5E030B
.long 0x7E501528
.long 0x7E521529
.long 0xD2A00028, 0x00025328
.long 0x7E54152A
.long 0x7E56152B
.long 0xD2A00029, 0x0002572A
.long 0x7E58152C
.long 0x7E5A152D
	;; [unrolled: 3-line block ×3, first 2 shown]
.long 0xD2A0002B, 0x00025F2E
.long 0xE07C1000, 0x8003280D
	;; [unrolled: 1-line block ×30, first 2 shown]
.long 0xBEC41E3A
.long 0x7E700304
.long 0x7E720305
.long 0x7E740306
.long 0x7E760307
.long 0x7E780308
.long 0x7E7A0309
.long 0x7E7C030A
.long 0x7E7E030B
.long 0x7E701538
.long 0x7E721539
.long 0xD2A00038, 0x00027338
.long 0x7E74153A
.long 0x7E76153B
.long 0xD2A00039, 0x0002773A
.long 0x7E78153C
.long 0x7E7A153D
	;; [unrolled: 3-line block ×3, first 2 shown]
.long 0xD2A0003B, 0x00027F3E
.long 0xE07C1000, 0x80033814
.long 0xBF800000
.long 0x7E2E02FF, 0x80000000
.long 0xD1196A01, 0x00013B01
.long 0x92469D22
.long 0xD1340002, 0x00008D02
.long 0x92469D20
.long 0xD1340003, 0x00008D03
.long 0xD0C90046, 0x00002900
	;; [unrolled: 1-line block ×3, first 2 shown]
.long 0x86CA4A46
.long 0xD1FE000D, 0x02060102
.long 0xD100000D, 0x012A1B17
	;; [unrolled: 1-line block ×5, first 2 shown]
.long 0x241C1C82
.long 0xD100000E, 0x012A1D17
.long 0xD9FE0000, 0x1800000E
	;; [unrolled: 1-line block ×3, first 2 shown]
.long 0x241E0082
.long 0xE05C1000, 0x800F200F
.long 0xE05C1010, 0x800F240F
	;; [unrolled: 1-line block ×9, first 2 shown]
.long 0x86CA4A46
.long 0xD1FE0014, 0x02060102
.long 0xD1000014, 0x012A2917
	;; [unrolled: 1-line block ×5, first 2 shown]
.long 0x242A2A82
.long 0xD1000015, 0x012A2B17
.long 0x242C0082
.long 0xD1FE0014, 0x02060103
.long 0xD1000014, 0x012A2917
	;; [unrolled: 1-line block ×18, first 2 shown]
.long 0xBF800001
.long 0x0A505028
	;; [unrolled: 1-line block ×18, first 2 shown]
.long 0xD0CC0030, 0x0001003E
.long 0xD1000020, 0x00C240F2
	;; [unrolled: 1-line block ×28, first 2 shown]
.long 0xBEC41E3A
.long 0x7E500304
	;; [unrolled: 1-line block ×11, first 2 shown]
.long 0xD2A00028, 0x00025328
.long 0x7E54152A
.long 0x7E56152B
.long 0xD2A00029, 0x0002572A
.long 0x7E58152C
.long 0x7E5A152D
	;; [unrolled: 3-line block ×3, first 2 shown]
.long 0xD2A0002B, 0x00025F2E
.long 0xE07C1000, 0x8003280D
	;; [unrolled: 1-line block ×30, first 2 shown]
.long 0xBEC41E3A
.long 0x7E700304
	;; [unrolled: 1-line block ×11, first 2 shown]
.long 0xD2A00038, 0x00027338
.long 0x7E74153A
.long 0x7E76153B
.long 0xD2A00039, 0x0002773A
.long 0x7E78153C
.long 0x7E7A153D
	;; [unrolled: 3-line block ×3, first 2 shown]
.long 0xD2A0003B, 0x00027F3E
.long 0xE07C1000, 0x80033814
.long 0xBF800000
.long 0x7E2E02FF, 0x80000000
.long 0xD1196A01, 0x00010301
	;; [unrolled: 1-line block ×6, first 2 shown]
.long 0x86CA4A46
.long 0xD1FE000D, 0x02060102
.long 0xD100000D, 0x012A1B17
	;; [unrolled: 1-line block ×5, first 2 shown]
.long 0x241C1C82
.long 0xD100000E, 0x012A1D17
.long 0xD9FE0000, 0x1800000E
	;; [unrolled: 1-line block ×3, first 2 shown]
.long 0x241E0082
.long 0xE05C1000, 0x800F200F
.long 0xE05C1010, 0x800F240F
	;; [unrolled: 1-line block ×9, first 2 shown]
.long 0x86CA4A46
.long 0xD1FE0014, 0x02060102
.long 0xD1000014, 0x012A2917
	;; [unrolled: 1-line block ×5, first 2 shown]
.long 0x242A2A82
.long 0xD1000015, 0x012A2B17
.long 0x242C0082
.long 0xD1FE0014, 0x02060103
.long 0xD1000014, 0x012A2917
	;; [unrolled: 1-line block ×18, first 2 shown]
.long 0xBF800001
.long 0x0A505028
	;; [unrolled: 1-line block ×18, first 2 shown]
.long 0xD0CC0030, 0x0001003E
.long 0xD1000020, 0x00C240F2
	;; [unrolled: 1-line block ×28, first 2 shown]
.long 0xBEC41E3A
.long 0x7E500304
	;; [unrolled: 1-line block ×11, first 2 shown]
.long 0xD2A00028, 0x00025328
.long 0x7E54152A
.long 0x7E56152B
.long 0xD2A00029, 0x0002572A
.long 0x7E58152C
.long 0x7E5A152D
	;; [unrolled: 3-line block ×3, first 2 shown]
.long 0xD2A0002B, 0x00025F2E
.long 0xE07C1000, 0x8003280D
	;; [unrolled: 1-line block ×30, first 2 shown]
.long 0xBEC41E3A
.long 0x7E700304
	;; [unrolled: 1-line block ×11, first 2 shown]
.long 0xD2A00038, 0x00027338
.long 0x7E74153A
.long 0x7E76153B
.long 0xD2A00039, 0x0002773A
.long 0x7E78153C
.long 0x7E7A153D
	;; [unrolled: 3-line block ×3, first 2 shown]
.long 0xD2A0003B, 0x00027F3E
.long 0xE07C1000, 0x80033814
.long 0xBF800000
.long 0x7E2E02FF, 0x80000000
.long 0xD1196A01, 0x00013B01
.long 0x92469D22
.long 0xD1340002, 0x00008D02
.long 0x92469D20
.long 0xD1340003, 0x00008D03
.long 0xD0C90046, 0x00002900
	;; [unrolled: 1-line block ×3, first 2 shown]
.long 0x86CA4A46
.long 0xD1FE000D, 0x02060102
.long 0xD100000D, 0x012A1B17
	;; [unrolled: 1-line block ×5, first 2 shown]
.long 0x241C1C82
.long 0xD100000E, 0x012A1D17
.long 0xD9FE0000, 0x1800000E
.long 0xD9FE0010, 0x1C00000E
.long 0x241E0082
.long 0xE05C1000, 0x800F200F
.long 0xE05C1010, 0x800F240F
	;; [unrolled: 1-line block ×9, first 2 shown]
.long 0x86CA4A46
.long 0xD1FE0014, 0x02060102
.long 0xD1000014, 0x012A2917
	;; [unrolled: 1-line block ×5, first 2 shown]
.long 0x242A2A82
.long 0xD1000015, 0x012A2B17
.long 0x242C0082
.long 0xD1FE0014, 0x02060103
.long 0xD1000014, 0x012A2917
.long 0xD3D84028, 0x18000160
.long 0xD3D84029, 0x18000164
.long 0xD3D8402A, 0x18000168
.long 0xD3D8402B, 0x1800016C
.long 0xD3D8402C, 0x18000170
.long 0xD3D8402D, 0x18000174
.long 0xD3D8402E, 0x18000178
.long 0xD3D8402F, 0x1800017C
.long 0xD3D84038, 0x18000161
.long 0xD3D84039, 0x18000165
.long 0xD3D8403A, 0x18000169
.long 0xD3D8403B, 0x1800016D
.long 0xD3D8403C, 0x18000171
.long 0xD3D8403D, 0x18000175
.long 0xD3D8403E, 0x18000179
.long 0xD3D8403F, 0x1800017D
.long 0xBF800001
.long 0x0A505028
	;; [unrolled: 1-line block ×18, first 2 shown]
.long 0xD0CC0030, 0x0001003E
.long 0xD1000020, 0x00C240F2
	;; [unrolled: 1-line block ×28, first 2 shown]
.long 0xBEC41E3A
.long 0x7E500304
	;; [unrolled: 1-line block ×11, first 2 shown]
.long 0xD2A00028, 0x00025328
.long 0x7E54152A
.long 0x7E56152B
.long 0xD2A00029, 0x0002572A
.long 0x7E58152C
.long 0x7E5A152D
	;; [unrolled: 3-line block ×3, first 2 shown]
.long 0xD2A0002B, 0x00025F2E
.long 0xE07C1000, 0x8003280D
	;; [unrolled: 1-line block ×30, first 2 shown]
.long 0xBEC41E3A
.long 0x7E700304
	;; [unrolled: 1-line block ×11, first 2 shown]
.long 0xD2A00038, 0x00027338
.long 0x7E74153A
.long 0x7E76153B
.long 0xD2A00039, 0x0002773A
.long 0x7E78153C
.long 0x7E7A153D
	;; [unrolled: 3-line block ×3, first 2 shown]
.long 0xD2A0003B, 0x00027F3E
.long 0xE07C1000, 0x80033814
.long 0xBF800000
.long 0x7E2E02FF, 0x80000000
.long 0xD1196A01, 0x00010301
	;; [unrolled: 1-line block ×6, first 2 shown]
.long 0x86CA4A46
.long 0xD1FE000D, 0x02060102
.long 0xD100000D, 0x012A1B17
	;; [unrolled: 1-line block ×5, first 2 shown]
.long 0x241C1C82
.long 0xD100000E, 0x012A1D17
.long 0xD9FE0000, 0x1800000E
	;; [unrolled: 1-line block ×3, first 2 shown]
.long 0x241E0082
.long 0xE05C1000, 0x800F200F
.long 0xE05C1010, 0x800F240F
	;; [unrolled: 1-line block ×9, first 2 shown]
.long 0x86CA4A46
.long 0xD1FE0014, 0x02060102
.long 0xD1000014, 0x012A2917
	;; [unrolled: 1-line block ×5, first 2 shown]
.long 0x242A2A82
.long 0xD1000015, 0x012A2B17
.long 0x242C0082
.long 0xD1FE0014, 0x02060103
.long 0xD1000014, 0x012A2917
	;; [unrolled: 1-line block ×18, first 2 shown]
.long 0xBF800001
.long 0x0A505028
.long 0x0A525228
.long 0x0A545428
.long 0x0A565628
.long 0x0A585828
.long 0x0A5A5A28
.long 0x0A5C5C28
.long 0x0A5E5E28
.long 0x0A707028
.long 0x0A727228
.long 0x0A747428
.long 0x0A767628
.long 0x0A787828
.long 0x0A7A7A28
.long 0x0A7C7C28
.long 0x0A7E7E28
.long 0xBF8C0000
.long 0xD0CC0030, 0x0001003E
.long 0xD1000020, 0x00C240F2
	;; [unrolled: 1-line block ×28, first 2 shown]
.long 0xBEC41E3A
.long 0x7E500304
	;; [unrolled: 1-line block ×11, first 2 shown]
.long 0xD2A00028, 0x00025328
.long 0x7E54152A
.long 0x7E56152B
.long 0xD2A00029, 0x0002572A
.long 0x7E58152C
.long 0x7E5A152D
.long 0xD2A0002A, 0x00025B2C
.long 0x7E5C152E
.long 0x7E5E152F
.long 0xD2A0002B, 0x00025F2E
.long 0xE07C1000, 0x8003280D
	;; [unrolled: 1-line block ×30, first 2 shown]
.long 0xBEC41E3A
.long 0x7E700304
.long 0x7E720305
.long 0x7E740306
.long 0x7E760307
.long 0x7E780308
.long 0x7E7A0309
.long 0x7E7C030A
.long 0x7E7E030B
.long 0x7E701538
.long 0x7E721539
.long 0xD2A00038, 0x00027338
.long 0x7E74153A
.long 0x7E76153B
.long 0xD2A00039, 0x0002773A
.long 0x7E78153C
.long 0x7E7A153D
	;; [unrolled: 3-line block ×3, first 2 shown]
.long 0xD2A0003B, 0x00027F3E
.long 0xE07C1000, 0x80033814
.long 0xBF800000
.long 0x7E2E02FF, 0x80000000
.long 0xD1196A01, 0x00013B01
.long 0x92469D22
.long 0xD1340002, 0x00008D02
.long 0x92469D20
.long 0xD1340003, 0x00008D03
.long 0xD0C90046, 0x00002900
	;; [unrolled: 1-line block ×3, first 2 shown]
.long 0x86CA4A46
.long 0xD1FE000D, 0x02060102
.long 0xD100000D, 0x012A1B17
	;; [unrolled: 1-line block ×5, first 2 shown]
.long 0x241C1C82
.long 0xD100000E, 0x012A1D17
.long 0xD9FE0000, 0x1800000E
	;; [unrolled: 1-line block ×3, first 2 shown]
.long 0x241E0082
.long 0xE05C1000, 0x800F200F
.long 0xE05C1010, 0x800F240F
	;; [unrolled: 1-line block ×9, first 2 shown]
.long 0x86CA4A46
.long 0xD1FE0014, 0x02060102
.long 0xD1000014, 0x012A2917
	;; [unrolled: 1-line block ×5, first 2 shown]
.long 0x242A2A82
.long 0xD1000015, 0x012A2B17
.long 0x242C0082
.long 0xD1FE0014, 0x02060103
.long 0xD1000014, 0x012A2917
	;; [unrolled: 1-line block ×18, first 2 shown]
.long 0xBF800001
.long 0x0A505028
	;; [unrolled: 1-line block ×18, first 2 shown]
.long 0xD0CC0030, 0x0001003E
.long 0xD1000020, 0x00C240F2
	;; [unrolled: 1-line block ×28, first 2 shown]
.long 0xBEC41E3A
.long 0x7E500304
	;; [unrolled: 1-line block ×11, first 2 shown]
.long 0xD2A00028, 0x00025328
.long 0x7E54152A
.long 0x7E56152B
.long 0xD2A00029, 0x0002572A
.long 0x7E58152C
.long 0x7E5A152D
	;; [unrolled: 3-line block ×3, first 2 shown]
.long 0xD2A0002B, 0x00025F2E
.long 0xE07C1000, 0x8003280D
.long 0xD0CC0030, 0x0001003E
.long 0xD1000020, 0x00C240F2
.long 0xD1000021, 0x00C242F2
.long 0xD3B14038, 0x18027120
.long 0xD0CC0030, 0x0001003E
.long 0xD1000022, 0x00C244F2
.long 0xD1000023, 0x00C246F2
.long 0xD3B1403A, 0x18027522
.long 0xD0CC0030, 0x0001003E
.long 0xD1000024, 0x00C248F2
.long 0xD1000025, 0x00C24AF2
.long 0xD3B1403C, 0x18027924
.long 0xD0CC0030, 0x0001003E
.long 0xD1000026, 0x00C24CF2
.long 0xD1000027, 0x00C24EF2
.long 0xD3B1403E, 0x18027D26
.long 0xD3A00038, 0x14E26029
.long 0xD3A01039, 0x14E66029
.long 0xD3A0003A, 0x14EA6229
.long 0xD3A0103B, 0x14EE6229
.long 0xD3A0003C, 0x14F26429
.long 0xD3A0103D, 0x14F66429
.long 0xD3A0003E, 0x14FA6629
.long 0xD3A0103F, 0x14FE6629
.long 0xD3B24004, 0x18027118
.long 0xD3B24006, 0x1802751A
.long 0xD3B24008, 0x1802791C
.long 0xD3B2400A, 0x18027D1E
.long 0xBEC41E3A
.long 0x7E700304
	;; [unrolled: 1-line block ×11, first 2 shown]
.long 0xD2A00038, 0x00027338
.long 0x7E74153A
.long 0x7E76153B
.long 0xD2A00039, 0x0002773A
.long 0x7E78153C
.long 0x7E7A153D
	;; [unrolled: 3-line block ×3, first 2 shown]
.long 0xD2A0003B, 0x00027F3E
.long 0xE07C1000, 0x80033814
.long 0xBF800000
.long 0x7E2E02FF, 0x80000000
.long 0xD1196A01, 0x00010301
	;; [unrolled: 1-line block ×6, first 2 shown]
.long 0x86CA4A46
.long 0xD1FE000D, 0x02060102
.long 0xD100000D, 0x012A1B17
	;; [unrolled: 1-line block ×5, first 2 shown]
.long 0x241C1C82
.long 0xD100000E, 0x012A1D17
.long 0xD9FE0000, 0x1800000E
	;; [unrolled: 1-line block ×3, first 2 shown]
.long 0x241E0082
.long 0xE05C1000, 0x800F200F
.long 0xE05C1010, 0x800F240F
	;; [unrolled: 1-line block ×9, first 2 shown]
.long 0x86CA4A46
.long 0xD1FE0014, 0x02060102
.long 0xD1000014, 0x012A2917
	;; [unrolled: 1-line block ×5, first 2 shown]
.long 0x242A2A82
.long 0xD1000015, 0x012A2B17
.long 0x242C0082
.long 0xD1FE0014, 0x02060103
.long 0xD1000014, 0x012A2917
	;; [unrolled: 1-line block ×18, first 2 shown]
.long 0xBF800001
.long 0x0A505028
	;; [unrolled: 1-line block ×18, first 2 shown]
.long 0xD0CC0030, 0x0001003E
.long 0xD1000020, 0x00C240F2
	;; [unrolled: 1-line block ×28, first 2 shown]
.long 0xBEC41E3A
.long 0x7E500304
	;; [unrolled: 1-line block ×11, first 2 shown]
.long 0xD2A00028, 0x00025328
.long 0x7E54152A
.long 0x7E56152B
.long 0xD2A00029, 0x0002572A
.long 0x7E58152C
.long 0x7E5A152D
	;; [unrolled: 3-line block ×3, first 2 shown]
.long 0xD2A0002B, 0x00025F2E
.long 0xE07C1000, 0x8003280D
	;; [unrolled: 1-line block ×30, first 2 shown]
.long 0xBEC41E3A
.long 0x7E700304
	;; [unrolled: 1-line block ×11, first 2 shown]
.long 0xD2A00038, 0x00027338
.long 0x7E74153A
.long 0x7E76153B
.long 0xD2A00039, 0x0002773A
.long 0x7E78153C
.long 0x7E7A153D
	;; [unrolled: 3-line block ×3, first 2 shown]
.long 0xD2A0003B, 0x00027F3E
.long 0xE07C1000, 0x80033814
.long 0xBF800000
.long 0x7E2E02FF, 0x80000000
.long 0xD1196A01, 0x00013B01
.long 0x92469D22
.long 0xD1340002, 0x00008D02
.long 0x92469D20
.long 0xD1340003, 0x00008D03
.long 0xD0C90046, 0x00002900
.long 0xD0C9004A, 0x00002B01
.long 0x86CA4A46
.long 0xD1FE000D, 0x02060102
.long 0xD100000D, 0x012A1B17
	;; [unrolled: 1-line block ×5, first 2 shown]
.long 0x241C1C82
.long 0xD100000E, 0x012A1D17
.long 0xD9FE0000, 0x1800000E
	;; [unrolled: 1-line block ×3, first 2 shown]
.long 0x241E0082
.long 0xE05C1000, 0x800F200F
.long 0xE05C1010, 0x800F240F
	;; [unrolled: 1-line block ×9, first 2 shown]
.long 0x86CA4A46
.long 0xD1FE0014, 0x02060102
.long 0xD1000014, 0x012A2917
	;; [unrolled: 1-line block ×5, first 2 shown]
.long 0x242A2A82
.long 0xD1000015, 0x012A2B17
.long 0x242C0082
.long 0xD1FE0014, 0x02060103
.long 0xD1000014, 0x012A2917
	;; [unrolled: 1-line block ×18, first 2 shown]
.long 0xBF800001
.long 0x0A505028
	;; [unrolled: 1-line block ×18, first 2 shown]
.long 0xD0CC0030, 0x0001003E
.long 0xD1000020, 0x00C240F2
	;; [unrolled: 1-line block ×28, first 2 shown]
.long 0xBEC41E3A
.long 0x7E500304
	;; [unrolled: 1-line block ×11, first 2 shown]
.long 0xD2A00028, 0x00025328
.long 0x7E54152A
.long 0x7E56152B
.long 0xD2A00029, 0x0002572A
.long 0x7E58152C
.long 0x7E5A152D
	;; [unrolled: 3-line block ×3, first 2 shown]
.long 0xD2A0002B, 0x00025F2E
.long 0xE07C1000, 0x8003280D
	;; [unrolled: 1-line block ×30, first 2 shown]
.long 0xBEC41E3A
.long 0x7E700304
	;; [unrolled: 1-line block ×11, first 2 shown]
.long 0xD2A00038, 0x00027338
.long 0x7E74153A
.long 0x7E76153B
.long 0xD2A00039, 0x0002773A
.long 0x7E78153C
.long 0x7E7A153D
	;; [unrolled: 3-line block ×3, first 2 shown]
.long 0xD2A0003B, 0x00027F3E
.long 0xE07C1000, 0x80033814
.long 0xBF800000
.long 0x7E2E02FF, 0x80000000
.long 0xD1196A01, 0x00010301
	;; [unrolled: 1-line block ×6, first 2 shown]
.long 0x86CA4A46
.long 0xD1FE000D, 0x02060102
.long 0xD100000D, 0x012A1B17
	;; [unrolled: 1-line block ×5, first 2 shown]
.long 0x241C1C82
.long 0xD100000E, 0x012A1D17
.long 0xD9FE0000, 0x1800000E
	;; [unrolled: 1-line block ×3, first 2 shown]
.long 0x241E0082
.long 0xE05C1000, 0x800F200F
.long 0xE05C1010, 0x800F240F
	;; [unrolled: 1-line block ×9, first 2 shown]
.long 0x86CA4A46
.long 0xD1FE0014, 0x02060102
.long 0xD1000014, 0x012A2917
	;; [unrolled: 1-line block ×5, first 2 shown]
.long 0x242A2A82
.long 0xD1000015, 0x012A2B17
.long 0x242C0082
.long 0xD1FE0014, 0x02060103
.long 0xD1000014, 0x012A2917
	;; [unrolled: 1-line block ×18, first 2 shown]
.long 0xBF800001
.long 0x0A505028
	;; [unrolled: 1-line block ×18, first 2 shown]
.long 0xD0CC0030, 0x0001003E
.long 0xD1000020, 0x00C240F2
	;; [unrolled: 1-line block ×28, first 2 shown]
.long 0xBEC41E3A
.long 0x7E500304
	;; [unrolled: 1-line block ×11, first 2 shown]
.long 0xD2A00028, 0x00025328
.long 0x7E54152A
.long 0x7E56152B
.long 0xD2A00029, 0x0002572A
.long 0x7E58152C
.long 0x7E5A152D
	;; [unrolled: 3-line block ×3, first 2 shown]
.long 0xD2A0002B, 0x00025F2E
.long 0xE07C1000, 0x8003280D
	;; [unrolled: 1-line block ×30, first 2 shown]
.long 0xBEC41E3A
.long 0x7E700304
	;; [unrolled: 1-line block ×11, first 2 shown]
.long 0xD2A00038, 0x00027338
.long 0x7E74153A
.long 0x7E76153B
.long 0xD2A00039, 0x0002773A
.long 0x7E78153C
.long 0x7E7A153D
	;; [unrolled: 3-line block ×3, first 2 shown]
.long 0xD2A0003B, 0x00027F3E
.long 0xE07C1000, 0x80033814
.long 0xBF800000
.long 0x7E2E02FF, 0x80000000
.long 0xD1196A01, 0x00013B01
.long 0x92469D22
.long 0xD1340002, 0x00008D02
.long 0x92469D20
.long 0xD1340003, 0x00008D03
.long 0xD0C90046, 0x00002900
	;; [unrolled: 1-line block ×3, first 2 shown]
.long 0x86CA4A46
.long 0xD1FE000D, 0x02060102
.long 0xD100000D, 0x012A1B17
	;; [unrolled: 1-line block ×5, first 2 shown]
.long 0x241C1C82
.long 0xD100000E, 0x012A1D17
.long 0xD9FE0000, 0x1800000E
	;; [unrolled: 1-line block ×3, first 2 shown]
.long 0x241E0082
.long 0xE05C1000, 0x800F200F
.long 0xE05C1010, 0x800F240F
	;; [unrolled: 1-line block ×9, first 2 shown]
.long 0x86CA4A46
.long 0xD1FE0014, 0x02060102
.long 0xD1000014, 0x012A2917
	;; [unrolled: 1-line block ×5, first 2 shown]
.long 0x242A2A82
.long 0xD1000015, 0x012A2B17
.long 0x242C0082
.long 0xD1FE0014, 0x02060103
.long 0xD1000014, 0x012A2917
	;; [unrolled: 1-line block ×18, first 2 shown]
.long 0xBF800001
.long 0x0A505028
	;; [unrolled: 1-line block ×18, first 2 shown]
.long 0xD0CC0030, 0x0001003E
.long 0xD1000020, 0x00C240F2
	;; [unrolled: 1-line block ×28, first 2 shown]
.long 0xBEC41E3A
.long 0x7E500304
	;; [unrolled: 1-line block ×11, first 2 shown]
.long 0xD2A00028, 0x00025328
.long 0x7E54152A
.long 0x7E56152B
.long 0xD2A00029, 0x0002572A
.long 0x7E58152C
.long 0x7E5A152D
	;; [unrolled: 3-line block ×3, first 2 shown]
.long 0xD2A0002B, 0x00025F2E
.long 0xE07C1000, 0x8003280D
	;; [unrolled: 1-line block ×30, first 2 shown]
.long 0xBEC41E3A
.long 0x7E700304
	;; [unrolled: 1-line block ×11, first 2 shown]
.long 0xD2A00038, 0x00027338
.long 0x7E74153A
.long 0x7E76153B
.long 0xD2A00039, 0x0002773A
.long 0x7E78153C
.long 0x7E7A153D
	;; [unrolled: 3-line block ×3, first 2 shown]
.long 0xD2A0003B, 0x00027F3E
.long 0xE07C1000, 0x80033814
.long 0xBF800000
.long 0x7E2E02FF, 0x80000000
.long 0xD1196A01, 0x00010301
	;; [unrolled: 1-line block ×6, first 2 shown]
.long 0x86CA4A46
.long 0xD1FE000D, 0x02060102
.long 0xD100000D, 0x012A1B17
	;; [unrolled: 1-line block ×5, first 2 shown]
.long 0x241C1C82
.long 0xD100000E, 0x012A1D17
.long 0xD9FE0000, 0x1800000E
	;; [unrolled: 1-line block ×3, first 2 shown]
.long 0x241E0082
.long 0xE05C1000, 0x800F200F
.long 0xE05C1010, 0x800F240F
	;; [unrolled: 1-line block ×9, first 2 shown]
.long 0x86CA4A46
.long 0xD1FE0014, 0x02060102
.long 0xD1000014, 0x012A2917
	;; [unrolled: 1-line block ×5, first 2 shown]
.long 0x242A2A82
.long 0xD1000015, 0x012A2B17
.long 0x242C0082
.long 0xD1FE0014, 0x02060103
.long 0xD1000014, 0x012A2917
	;; [unrolled: 1-line block ×18, first 2 shown]
.long 0xBF800001
.long 0x0A505028
	;; [unrolled: 1-line block ×18, first 2 shown]
.long 0xD0CC0030, 0x0001003E
.long 0xD1000020, 0x00C240F2
	;; [unrolled: 1-line block ×28, first 2 shown]
.long 0xBEC41E3A
.long 0x7E500304
	;; [unrolled: 1-line block ×11, first 2 shown]
.long 0xD2A00028, 0x00025328
.long 0x7E54152A
.long 0x7E56152B
.long 0xD2A00029, 0x0002572A
.long 0x7E58152C
.long 0x7E5A152D
	;; [unrolled: 3-line block ×3, first 2 shown]
.long 0xD2A0002B, 0x00025F2E
.long 0xE07C1000, 0x8003280D
.long 0xD0CC0030, 0x0001003E
.long 0xD1000020, 0x00C240F2
.long 0xD1000021, 0x00C242F2
.long 0xD3B14038, 0x18027120
.long 0xD0CC0030, 0x0001003E
.long 0xD1000022, 0x00C244F2
.long 0xD1000023, 0x00C246F2
.long 0xD3B1403A, 0x18027522
.long 0xD0CC0030, 0x0001003E
.long 0xD1000024, 0x00C248F2
.long 0xD1000025, 0x00C24AF2
.long 0xD3B1403C, 0x18027924
.long 0xD0CC0030, 0x0001003E
.long 0xD1000026, 0x00C24CF2
.long 0xD1000027, 0x00C24EF2
.long 0xD3B1403E, 0x18027D26
.long 0xD3A00038, 0x14E26029
.long 0xD3A01039, 0x14E66029
.long 0xD3A0003A, 0x14EA6229
.long 0xD3A0103B, 0x14EE6229
.long 0xD3A0003C, 0x14F26429
.long 0xD3A0103D, 0x14F66429
.long 0xD3A0003E, 0x14FA6629
.long 0xD3A0103F, 0x14FE6629
.long 0xD3B24004, 0x18027118
.long 0xD3B24006, 0x1802751A
.long 0xD3B24008, 0x1802791C
.long 0xD3B2400A, 0x18027D1E
.long 0xBEC41E3A
.long 0x7E700304
	;; [unrolled: 1-line block ×11, first 2 shown]
.long 0xD2A00038, 0x00027338
.long 0x7E74153A
.long 0x7E76153B
.long 0xD2A00039, 0x0002773A
.long 0x7E78153C
.long 0x7E7A153D
	;; [unrolled: 3-line block ×3, first 2 shown]
.long 0xD2A0003B, 0x00027F3E
.long 0xE07C1000, 0x80033814
.long 0xBF800000
.long 0x7E2E02FF, 0x80000000
.long 0xD1196A01, 0x00013B01
.long 0x92469D22
.long 0xD1340002, 0x00008D02
.long 0x92469D20
.long 0xD1340003, 0x00008D03
.long 0xD0C90046, 0x00002900
	;; [unrolled: 1-line block ×3, first 2 shown]
.long 0x86CA4A46
.long 0xD1FE000D, 0x02060102
.long 0xD100000D, 0x012A1B17
	;; [unrolled: 1-line block ×5, first 2 shown]
.long 0x241C1C82
.long 0xD100000E, 0x012A1D17
.long 0xD9FE0000, 0x1800000E
	;; [unrolled: 1-line block ×3, first 2 shown]
.long 0x241E0082
.long 0xE05C1000, 0x800F200F
.long 0xE05C1010, 0x800F240F
	;; [unrolled: 1-line block ×9, first 2 shown]
.long 0x86CA4A46
.long 0xD1FE0014, 0x02060102
.long 0xD1000014, 0x012A2917
.long 0xE05C1000, 0x80043014
.long 0x924602FF, 0x00000100
.long 0xD1350015, 0x00008D00
.long 0x242A2A82
.long 0xD1000015, 0x012A2B17
.long 0x242C0082
.long 0xD1FE0014, 0x02060103
.long 0xD1000014, 0x012A2917
	;; [unrolled: 1-line block ×18, first 2 shown]
.long 0xBF800001
.long 0x0A505028
.long 0x0A525228
.long 0x0A545428
.long 0x0A565628
.long 0x0A585828
.long 0x0A5A5A28
.long 0x0A5C5C28
.long 0x0A5E5E28
.long 0x0A707028
.long 0x0A727228
.long 0x0A747428
.long 0x0A767628
.long 0x0A787828
.long 0x0A7A7A28
.long 0x0A7C7C28
.long 0x0A7E7E28
.long 0xBF8C0000
.long 0xD0CC0030, 0x0001003E
.long 0xD1000020, 0x00C240F2
	;; [unrolled: 1-line block ×28, first 2 shown]
.long 0xBEC41E3A
.long 0x7E500304
	;; [unrolled: 1-line block ×11, first 2 shown]
.long 0xD2A00028, 0x00025328
.long 0x7E54152A
.long 0x7E56152B
.long 0xD2A00029, 0x0002572A
.long 0x7E58152C
.long 0x7E5A152D
	;; [unrolled: 3-line block ×3, first 2 shown]
.long 0xD2A0002B, 0x00025F2E
.long 0xE07C1000, 0x8003280D
	;; [unrolled: 1-line block ×30, first 2 shown]
.long 0xBEC41E3A
.long 0x7E700304
	;; [unrolled: 1-line block ×11, first 2 shown]
.long 0xD2A00038, 0x00027338
.long 0x7E74153A
.long 0x7E76153B
.long 0xD2A00039, 0x0002773A
.long 0x7E78153C
.long 0x7E7A153D
	;; [unrolled: 3-line block ×3, first 2 shown]
.long 0xD2A0003B, 0x00027F3E
.long 0xE07C1000, 0x80033814
.long 0xBF800000
.long 0x7E2E02FF, 0x80000000
.long 0xD1196A01, 0x00010301
	;; [unrolled: 1-line block ×6, first 2 shown]
.long 0x86CA4A46
.long 0xD1FE000D, 0x02060102
.long 0xD100000D, 0x012A1B17
	;; [unrolled: 1-line block ×5, first 2 shown]
.long 0x241C1C82
.long 0xD100000E, 0x012A1D17
.long 0xD9FE0000, 0x1800000E
.long 0xD9FE0010, 0x1C00000E
.long 0x241E0082
.long 0xE05C1000, 0x800F200F
.long 0xE05C1010, 0x800F240F
	;; [unrolled: 1-line block ×9, first 2 shown]
.long 0x86CA4A46
.long 0xD1FE0014, 0x02060102
.long 0xD1000014, 0x012A2917
	;; [unrolled: 1-line block ×5, first 2 shown]
.long 0x242A2A82
.long 0xD1000015, 0x012A2B17
.long 0x242C0082
.long 0xD1FE0014, 0x02060103
.long 0xD1000014, 0x012A2917
	;; [unrolled: 1-line block ×18, first 2 shown]
.long 0xBF800001
.long 0x0A505028
	;; [unrolled: 1-line block ×18, first 2 shown]
.long 0xD0CC0030, 0x0001003E
.long 0xD1000020, 0x00C240F2
	;; [unrolled: 1-line block ×28, first 2 shown]
.long 0xBEC41E3A
.long 0x7E500304
	;; [unrolled: 1-line block ×11, first 2 shown]
.long 0xD2A00028, 0x00025328
.long 0x7E54152A
.long 0x7E56152B
.long 0xD2A00029, 0x0002572A
.long 0x7E58152C
.long 0x7E5A152D
	;; [unrolled: 3-line block ×3, first 2 shown]
.long 0xD2A0002B, 0x00025F2E
.long 0xE07C1000, 0x8003280D
	;; [unrolled: 1-line block ×30, first 2 shown]
.long 0xBEC41E3A
.long 0x7E700304
	;; [unrolled: 1-line block ×11, first 2 shown]
.long 0xD2A00038, 0x00027338
.long 0x7E74153A
.long 0x7E76153B
.long 0xD2A00039, 0x0002773A
.long 0x7E78153C
.long 0x7E7A153D
	;; [unrolled: 3-line block ×3, first 2 shown]
.long 0xD2A0003B, 0x00027F3E
.long 0xE07C1000, 0x80033814
.long 0xBF800000
.long 0x7E2E02FF, 0x80000000
.long 0xD1196A01, 0x00013B01
.long 0x92469D22
.long 0xD1340002, 0x00008D02
.long 0x92469D20
.long 0xD1340003, 0x00008D03
.long 0xD0C90046, 0x00002900
	;; [unrolled: 1-line block ×3, first 2 shown]
.long 0x86CA4A46
.long 0xD1FE000D, 0x02060102
.long 0xD100000D, 0x012A1B17
	;; [unrolled: 1-line block ×5, first 2 shown]
.long 0x241C1C82
.long 0xD100000E, 0x012A1D17
.long 0xD9FE0000, 0x1800000E
.long 0xD9FE0010, 0x1C00000E
.long 0x241E0082
.long 0xE05C1000, 0x800F200F
.long 0xE05C1010, 0x800F240F
.long 0xD1FE000D, 0x02060103
.long 0xD100000D, 0x012A1B17
.long 0xD1196A01, 0x00010301
.long 0xD1340002, 0x00004502
.long 0xD1340003, 0x00004103
.long 0xD0C90046, 0x00002900
.long 0xD0C9004A, 0x00002B01
.long 0x86CA4A46
.long 0xD1FE0014, 0x02060102
.long 0xD1000014, 0x012A2917
	;; [unrolled: 1-line block ×5, first 2 shown]
.long 0x242A2A82
.long 0xD1000015, 0x012A2B17
.long 0x242C0082
.long 0xD1FE0014, 0x02060103
.long 0xD1000014, 0x012A2917
.long 0x7E50038C
.long 0x7E520390
	;; [unrolled: 1-line block ×34, first 2 shown]
.long 0xD0CC0030, 0x0001003E
.long 0xD1000020, 0x00C240F2
	;; [unrolled: 1-line block ×28, first 2 shown]
.long 0xBEC41E3A
.long 0x7E500304
	;; [unrolled: 1-line block ×11, first 2 shown]
.long 0xD2A00028, 0x00025328
.long 0x7E54152A
.long 0x7E56152B
.long 0xD2A00029, 0x0002572A
.long 0x7E58152C
.long 0x7E5A152D
	;; [unrolled: 3-line block ×3, first 2 shown]
.long 0xD2A0002B, 0x00025F2E
.long 0xE07C1000, 0x8003280D
	;; [unrolled: 1-line block ×30, first 2 shown]
.long 0xBEC41E3A
.long 0x7E700304
	;; [unrolled: 1-line block ×11, first 2 shown]
.long 0xD2A00038, 0x00027338
.long 0x7E74153A
.long 0x7E76153B
.long 0xD2A00039, 0x0002773A
.long 0x7E78153C
.long 0x7E7A153D
	;; [unrolled: 3-line block ×3, first 2 shown]
.long 0xD2A0003B, 0x00027F3E
.long 0xE07C1000, 0x80033814
.long 0xBF800000
.long 0x7E2E02FF, 0x80000000
.long 0xD1196A01, 0x00010301
	;; [unrolled: 1-line block ×6, first 2 shown]
.long 0x86CA4A46
.long 0xD1FE000D, 0x02060102
.long 0xD100000D, 0x012A1B17
	;; [unrolled: 1-line block ×5, first 2 shown]
.long 0x241C1C82
.long 0xD100000E, 0x012A1D17
.long 0xD9FE0000, 0x1800000E
	;; [unrolled: 1-line block ×3, first 2 shown]
.long 0x241E0082
.long 0xE05C1000, 0x800F200F
.long 0xE05C1010, 0x800F240F
	;; [unrolled: 1-line block ×9, first 2 shown]
.long 0x86CA4A46
.long 0xD1FE0014, 0x02060102
.long 0xD1000014, 0x012A2917
.long 0xE05C1000, 0x80043014
.long 0x924602FF, 0x00000100
.long 0xD1350015, 0x00008D00
.long 0x242A2A82
.long 0xD1000015, 0x012A2B17
.long 0x242C0082
.long 0xD1FE0014, 0x02060103
.long 0xD1000014, 0x012A2917
.long 0x7E50038E
.long 0x7E520392
	;; [unrolled: 1-line block ×34, first 2 shown]
.long 0xD0CC0030, 0x0001003E
.long 0xD1000020, 0x00C240F2
	;; [unrolled: 1-line block ×28, first 2 shown]
.long 0xBEC41E3A
.long 0x7E500304
	;; [unrolled: 1-line block ×11, first 2 shown]
.long 0xD2A00028, 0x00025328
.long 0x7E54152A
.long 0x7E56152B
.long 0xD2A00029, 0x0002572A
.long 0x7E58152C
.long 0x7E5A152D
	;; [unrolled: 3-line block ×3, first 2 shown]
.long 0xD2A0002B, 0x00025F2E
.long 0xE07C1000, 0x8003280D
	;; [unrolled: 1-line block ×30, first 2 shown]
.long 0xBEC41E3A
.long 0x7E700304
	;; [unrolled: 1-line block ×11, first 2 shown]
.long 0xD2A00038, 0x00027338
.long 0x7E74153A
.long 0x7E76153B
.long 0xD2A00039, 0x0002773A
.long 0x7E78153C
.long 0x7E7A153D
	;; [unrolled: 3-line block ×3, first 2 shown]
.long 0xD2A0003B, 0x00027F3E
.long 0xE07C1000, 0x80033814
.long 0xBF800000
.long 0x7E2E02FF, 0x80000000
.long 0xD1196A01, 0x00013B01
.long 0x92469D22
.long 0xD1340002, 0x00008D02
.long 0x92469D20
.long 0xD1340003, 0x00008D03
.long 0xD0C90046, 0x00002900
	;; [unrolled: 1-line block ×3, first 2 shown]
.long 0x86CA4A46
.long 0xD1FE000D, 0x02060102
.long 0xD100000D, 0x012A1B17
	;; [unrolled: 1-line block ×5, first 2 shown]
.long 0x241C1C82
.long 0xD100000E, 0x012A1D17
.long 0xD9FE0000, 0x1800000E
	;; [unrolled: 1-line block ×3, first 2 shown]
.long 0x241E0082
.long 0xE05C1000, 0x800F200F
.long 0xE05C1010, 0x800F240F
	;; [unrolled: 1-line block ×9, first 2 shown]
.long 0x86CA4A46
.long 0xD1FE0014, 0x02060102
.long 0xD1000014, 0x012A2917
	;; [unrolled: 1-line block ×5, first 2 shown]
.long 0x242A2A82
.long 0xD1000015, 0x012A2B17
.long 0x242C0082
.long 0xD1FE0014, 0x02060103
.long 0xD1000014, 0x012A2917
.long 0x7E5003AC
.long 0x7E5203B0
	;; [unrolled: 1-line block ×34, first 2 shown]
.long 0xD0CC0030, 0x0001003E
.long 0xD1000020, 0x00C240F2
	;; [unrolled: 1-line block ×28, first 2 shown]
.long 0xBEC41E3A
.long 0x7E500304
	;; [unrolled: 1-line block ×11, first 2 shown]
.long 0xD2A00028, 0x00025328
.long 0x7E54152A
.long 0x7E56152B
.long 0xD2A00029, 0x0002572A
.long 0x7E58152C
.long 0x7E5A152D
	;; [unrolled: 3-line block ×3, first 2 shown]
.long 0xD2A0002B, 0x00025F2E
.long 0xE07C1000, 0x8003280D
	;; [unrolled: 1-line block ×30, first 2 shown]
.long 0xBEC41E3A
.long 0x7E700304
	;; [unrolled: 1-line block ×11, first 2 shown]
.long 0xD2A00038, 0x00027338
.long 0x7E74153A
.long 0x7E76153B
.long 0xD2A00039, 0x0002773A
.long 0x7E78153C
.long 0x7E7A153D
.long 0xD2A0003A, 0x00027B3C
.long 0x7E7C153E
.long 0x7E7E153F
.long 0xD2A0003B, 0x00027F3E
.long 0xE07C1000, 0x80033814
.long 0xBF800000
.long 0x7E2E02FF, 0x80000000
.long 0xD1196A01, 0x00010301
	;; [unrolled: 1-line block ×6, first 2 shown]
.long 0x86CA4A46
.long 0xD1FE000D, 0x02060102
.long 0xD100000D, 0x012A1B17
	;; [unrolled: 1-line block ×5, first 2 shown]
.long 0x241C1C82
.long 0xD100000E, 0x012A1D17
.long 0xD9FE0000, 0x1800000E
	;; [unrolled: 1-line block ×3, first 2 shown]
.long 0x241E0082
.long 0xE05C1000, 0x800F200F
.long 0xE05C1010, 0x800F240F
	;; [unrolled: 1-line block ×9, first 2 shown]
.long 0x86CA4A46
.long 0xD1FE0014, 0x02060102
.long 0xD1000014, 0x012A2917
	;; [unrolled: 1-line block ×5, first 2 shown]
.long 0x242A2A82
.long 0xD1000015, 0x012A2B17
.long 0x242C0082
.long 0xD1FE0014, 0x02060103
.long 0xD1000014, 0x012A2917
.long 0x7E5003AE
.long 0x7E5203B2
	;; [unrolled: 1-line block ×34, first 2 shown]
.long 0xD0CC0030, 0x0001003E
.long 0xD1000020, 0x00C240F2
	;; [unrolled: 1-line block ×28, first 2 shown]
.long 0xBEC41E3A
.long 0x7E500304
	;; [unrolled: 1-line block ×11, first 2 shown]
.long 0xD2A00028, 0x00025328
.long 0x7E54152A
.long 0x7E56152B
.long 0xD2A00029, 0x0002572A
.long 0x7E58152C
.long 0x7E5A152D
	;; [unrolled: 3-line block ×3, first 2 shown]
.long 0xD2A0002B, 0x00025F2E
.long 0xE07C1000, 0x8003280D
	;; [unrolled: 1-line block ×30, first 2 shown]
.long 0xBEC41E3A
.long 0x7E700304
	;; [unrolled: 1-line block ×11, first 2 shown]
.long 0xD2A00038, 0x00027338
.long 0x7E74153A
.long 0x7E76153B
.long 0xD2A00039, 0x0002773A
.long 0x7E78153C
.long 0x7E7A153D
	;; [unrolled: 3-line block ×3, first 2 shown]
.long 0xD2A0003B, 0x00027F3E
.long 0xE07C1000, 0x80033814
.long 0xBF800000
.long 0x7E2E02FF, 0x80000000
.long 0xD1196A01, 0x00013B01
.long 0x92469D22
.long 0xD1340002, 0x00008D02
.long 0x92469D20
.long 0xD1340003, 0x00008D03
.long 0xD0C90046, 0x00002900
	;; [unrolled: 1-line block ×3, first 2 shown]
.long 0x86CA4A46
.long 0xD1FE000D, 0x02060102
.long 0xD100000D, 0x012A1B17
	;; [unrolled: 1-line block ×5, first 2 shown]
.long 0x241C1C82
.long 0xD100000E, 0x012A1D17
.long 0xD9FE0000, 0x1800000E
	;; [unrolled: 1-line block ×3, first 2 shown]
.long 0x241E0082
.long 0xE05C1000, 0x800F200F
.long 0xE05C1010, 0x800F240F
	;; [unrolled: 1-line block ×9, first 2 shown]
.long 0x86CA4A46
.long 0xD1FE0014, 0x02060102
.long 0xD1000014, 0x012A2917
	;; [unrolled: 1-line block ×5, first 2 shown]
.long 0x242A2A82
.long 0xD1000015, 0x012A2B17
.long 0x242C0082
.long 0xD1FE0014, 0x02060103
.long 0xD1000014, 0x012A2917
.long 0x7E5003CC
.long 0x7E5203D0
	;; [unrolled: 1-line block ×34, first 2 shown]
.long 0xD0CC0030, 0x0001003E
.long 0xD1000020, 0x00C240F2
	;; [unrolled: 1-line block ×28, first 2 shown]
.long 0xBEC41E3A
.long 0x7E500304
	;; [unrolled: 1-line block ×11, first 2 shown]
.long 0xD2A00028, 0x00025328
.long 0x7E54152A
.long 0x7E56152B
.long 0xD2A00029, 0x0002572A
.long 0x7E58152C
.long 0x7E5A152D
	;; [unrolled: 3-line block ×3, first 2 shown]
.long 0xD2A0002B, 0x00025F2E
.long 0xE07C1000, 0x8003280D
	;; [unrolled: 1-line block ×30, first 2 shown]
.long 0xBEC41E3A
.long 0x7E700304
	;; [unrolled: 1-line block ×11, first 2 shown]
.long 0xD2A00038, 0x00027338
.long 0x7E74153A
.long 0x7E76153B
.long 0xD2A00039, 0x0002773A
.long 0x7E78153C
.long 0x7E7A153D
	;; [unrolled: 3-line block ×3, first 2 shown]
.long 0xD2A0003B, 0x00027F3E
.long 0xE07C1000, 0x80033814
.long 0xBF800000
.long 0x7E2E02FF, 0x80000000
.long 0xD1196A01, 0x00010301
	;; [unrolled: 1-line block ×6, first 2 shown]
.long 0x86CA4A46
.long 0xD1FE000D, 0x02060102
.long 0xD100000D, 0x012A1B17
	;; [unrolled: 1-line block ×5, first 2 shown]
.long 0x241C1C82
.long 0xD100000E, 0x012A1D17
.long 0xD9FE0000, 0x1800000E
	;; [unrolled: 1-line block ×3, first 2 shown]
.long 0x241E0082
.long 0xE05C1000, 0x800F200F
.long 0xE05C1010, 0x800F240F
	;; [unrolled: 1-line block ×9, first 2 shown]
.long 0x86CA4A46
.long 0xD1FE0014, 0x02060102
.long 0xD1000014, 0x012A2917
	;; [unrolled: 1-line block ×5, first 2 shown]
.long 0x242A2A82
.long 0xD1000015, 0x012A2B17
.long 0x242C0082
.long 0xD1FE0014, 0x02060103
.long 0xD1000014, 0x012A2917
.long 0x7E5003CE
.long 0x7E5203D2
	;; [unrolled: 1-line block ×34, first 2 shown]
.long 0xD0CC0030, 0x0001003E
.long 0xD1000020, 0x00C240F2
	;; [unrolled: 1-line block ×28, first 2 shown]
.long 0xBEC41E3A
.long 0x7E500304
	;; [unrolled: 1-line block ×11, first 2 shown]
.long 0xD2A00028, 0x00025328
.long 0x7E54152A
.long 0x7E56152B
.long 0xD2A00029, 0x0002572A
.long 0x7E58152C
.long 0x7E5A152D
	;; [unrolled: 3-line block ×3, first 2 shown]
.long 0xD2A0002B, 0x00025F2E
.long 0xE07C1000, 0x8003280D
	;; [unrolled: 1-line block ×30, first 2 shown]
.long 0xBEC41E3A
.long 0x7E700304
	;; [unrolled: 1-line block ×11, first 2 shown]
.long 0xD2A00038, 0x00027338
.long 0x7E74153A
.long 0x7E76153B
.long 0xD2A00039, 0x0002773A
.long 0x7E78153C
.long 0x7E7A153D
	;; [unrolled: 3-line block ×3, first 2 shown]
.long 0xD2A0003B, 0x00027F3E
.long 0xE07C1000, 0x80033814
.long 0xBF800000
.long 0xBF820201
	;; [unrolled: 1-line block ×3, first 2 shown]
.long 0x260808FF, 0x7FFFFFFF
.long 0x260A0AFF, 0x7FFFFFFF
	;; [unrolled: 1-line block ×8, first 2 shown]
.long 0xBE801D44
.long 0xD044006A, 0x00006D04
.long 0x14080837
.long 0x00080880
.long 0xD044006A, 0x00006D05
.long 0x140A0A37
	;; [unrolled: 3-line block ×8, first 2 shown]
.long 0x00161680
.long 0xBE801D44
.long 0x0A1808FF, 0x3D372713
.long 0xD1CB000C, 0x03CA1904
.long 0x0A181904
.long 0x0A1818FF, 0x40135761
.long 0x7E18410C
.long 0xBF800000
.long 0x021818F2
.long 0x7E18450C
.long 0xBF800000
.long 0xD1CB000C, 0x03D218F5
.long 0x0A181904
.long 0x0A0818F0
.long 0x0A180AFF, 0x3D372713
.long 0xD1CB000C, 0x03CA1905
.long 0x0A181905
.long 0x0A1818FF, 0x40135761
.long 0x7E18410C
.long 0xBF800000
.long 0x021818F2
.long 0x7E18450C
.long 0xBF800000
.long 0xD1CB000C, 0x03D218F5
	;; [unrolled: 12-line block ×8, first 2 shown]
.long 0x0A18190B
.long 0x0A1618F0
	;; [unrolled: 1-line block ×4, first 2 shown]
.long 0xD046006A, 0x00010104
.long 0x0008090C
.long 0x0A180A36
.long 0xD046006A, 0x00010105
.long 0x000A0B0C
.long 0x0A180C36
	;; [unrolled: 3-line block ×8, first 2 shown]
.long 0xD10B0004, 0x00010104
.long 0xD10B0005, 0x00010105
	;; [unrolled: 1-line block ×8, first 2 shown]
.long 0xBE801D44
.long 0x0A0808FF, 0xBFB8AA3B
.long 0x7E084104
.long 0xBF800000
.long 0x020808F2
.long 0x7E084504
.long 0xBF800000
.long 0x0A0A0AFF, 0xBFB8AA3B
.long 0x7E0A4105
.long 0xBF800000
.long 0x020A0AF2
.long 0x7E0A4505
	;; [unrolled: 6-line block ×8, first 2 shown]
.long 0xBF800000
.long 0xBE801D44
	;; [unrolled: 1-line block ×3, first 2 shown]
.long 0x0A0808FF, 0x4038AA3B
.long 0x7E084104
.long 0xBF800000
.long 0x020808F2
.long 0x7E084504
.long 0xBF800000
.long 0xD1CB0004, 0x03CA08F5
.long 0x0A080837
.long 0x0A0A0A36
.long 0x0A0A0AFF, 0x4038AA3B
.long 0x7E0A4105
.long 0xBF800000
.long 0x020A0AF2
.long 0x7E0A4505
.long 0xBF800000
.long 0xD1CB0005, 0x03CA0AF5
.long 0x0A0A0A37
.long 0x0A0C0C36
	;; [unrolled: 9-line block ×8, first 2 shown]
.long 0x0A1808FF, 0x3D372713
.long 0xD1CB000C, 0x03CA1904
.long 0x0A181904
.long 0x0A1818FF, 0x40135761
.long 0x7E18410C
.long 0xBF800000
.long 0x021818F2
.long 0x7E18450C
.long 0xBF800000
.long 0xD1CB000C, 0x03D218F5
.long 0x0A181904
.long 0x0A1818F0
.long 0x0A081836
.long 0x0A180AFF, 0x3D372713
.long 0xD1CB000C, 0x03CA1905
.long 0x0A181905
.long 0x0A1818FF, 0x40135761
.long 0x7E18410C
.long 0xBF800000
.long 0x021818F2
.long 0x7E18450C
.long 0xBF800000
.long 0xD1CB000C, 0x03D218F5
.long 0x0A181905
.long 0x0A1818F0
.long 0x0A0A1836
	;; [unrolled: 13-line block ×8, first 2 shown]
.long 0xBE801D44
.long 0xBF810000
